;; amdgpu-corpus repo=zjin-lcf/HeCBench kind=compiled arch=gfx950 opt=O3
	.amdgcn_target "amdgcn-amd-amdhsa--gfx950"
	.amdhsa_code_object_version 6
	.text
	.protected	_Z19kernel_baseToNumberPcl ; -- Begin function _Z19kernel_baseToNumberPcl
	.globl	_Z19kernel_baseToNumberPcl
	.p2align	8
	.type	_Z19kernel_baseToNumberPcl,@function
_Z19kernel_baseToNumberPcl:             ; @_Z19kernel_baseToNumberPcl
; %bb.0:
	s_load_dword s3, s[0:1], 0x1c
	s_load_dwordx4 s[24:27], s[0:1], 0x0
	v_mov_b32_e32 v1, 0
	s_waitcnt lgkmcnt(0)
	s_and_b32 s0, s3, 0xffff
	s_mul_i32 s2, s2, s0
	v_add_u32_e32 v0, s2, v0
	v_cmp_gt_i64_e32 vcc, s[26:27], v[0:1]
	s_and_saveexec_b64 s[0:1], vcc
	s_cbranch_execz .LBB0_44
; %bb.1:
	v_mov_b32_e32 v3, -1
	v_not_b32_e32 v2, v0
	v_lshl_add_u64 v[2:3], s[26:27], 0, v[2:3]
	s_mov_b64 s[0:1], 0x1bfff
	v_cmp_lt_u64_e32 vcc, s[0:1], v[2:3]
	s_mov_b64 s[0:1], -1
	s_and_saveexec_b64 s[28:29], vcc
	s_cbranch_execz .LBB0_5
; %bb.2:
	v_lshrrev_b64 v[2:3], 14, v[2:3]
	v_lshl_add_u64 v[2:3], v[2:3], 0, 1
	v_and_b32_e32 v4, -8, v2
	v_mov_b32_e32 v5, v3
	v_lshl_add_u64 v[6:7], s[24:25], 0, v[0:1]
	s_mov_b64 s[0:1], 0x1c000
	v_lshl_add_u64 v[6:7], v[6:7], 0, s[0:1]
	s_mov_b64 s[30:31], 0
	s_movk_i32 s33, 0x41
	s_movk_i32 s36, 0x54
	;; [unrolled: 1-line block ×5, first 2 shown]
	s_mov_b64 s[34:35], 0x20000
	v_mov_b64_e32 v[8:9], v[4:5]
.LBB0_3:                                ; =>This Inner Loop Header: Depth=1
	v_add_co_u32_e32 v10, vcc, 0xfffe4000, v6
	v_lshl_add_u64 v[8:9], v[8:9], 0, -8
	s_nop 0
	v_addc_co_u32_e32 v11, vcc, -1, v7, vcc
	v_add_co_u32_e32 v12, vcc, 0xfffe8000, v6
	s_nop 1
	v_addc_co_u32_e32 v13, vcc, -1, v7, vcc
	v_add_co_u32_e32 v14, vcc, 0xfffec000, v6
	global_load_ubyte v24, v[10:11], off
	global_load_ubyte v25, v[12:13], off
	v_addc_co_u32_e32 v15, vcc, -1, v7, vcc
	v_add_co_u32_e32 v16, vcc, 0xffff0000, v6
	global_load_ubyte v26, v[14:15], off
	s_nop 0
	v_addc_co_u32_e32 v17, vcc, -1, v7, vcc
	v_add_co_u32_e32 v18, vcc, 0xffff4000, v6
	global_load_ubyte v27, v[16:17], off
	s_nop 0
	;; [unrolled: 4-line block ×3, first 2 shown]
	v_addc_co_u32_e32 v21, vcc, -1, v7, vcc
	global_load_ubyte v29, v[20:21], off
	v_add_co_u32_e32 v22, vcc, 0xffffc000, v6
	s_waitcnt vmcnt(5)
	v_and_b32_e32 v24, 0xdf, v24
	v_addc_co_u32_e32 v23, vcc, -1, v7, vcc
	global_load_ubyte v30, v[22:23], off
	global_load_ubyte v31, v[6:7], off
	s_waitcnt vmcnt(6)
	v_and_b32_e32 v25, 0xdf, v25
	v_cmp_eq_u16_e64 s[6:7], s33, v25
	s_waitcnt vmcnt(5)
	v_and_b32_e32 v26, 0xdf, v26
	v_cmp_eq_u16_e64 s[8:9], s37, v26
	v_cndmask_b32_e64 v33, 4, 0, s[6:7]
	v_cmp_eq_u16_e64 s[6:7], s36, v26
	v_cmp_eq_u16_e64 s[10:11], s33, v26
	s_waitcnt vmcnt(4)
	v_and_b32_e32 v27, 0xdf, v27
	v_cmp_eq_u16_e64 s[14:15], s33, v27
	v_cndmask_b32_e64 v34, 4, 0, s[10:11]
	s_or_b64 s[6:7], s[6:7], s[8:9]
	v_cmp_eq_u16_e32 vcc, s36, v24
	s_waitcnt vmcnt(3)
	v_and_b32_e32 v28, 0xdf, v28
	v_cmp_eq_u16_e64 s[0:1], s37, v24
	v_cmp_eq_u16_e64 s[2:3], s33, v24
	v_cndmask_b32_e64 v35, 4, 0, s[14:15]
	v_cndmask_b32_e64 v34, v34, 3, s[6:7]
	s_waitcnt vmcnt(2)
	v_and_b32_e32 v29, 0xdf, v29
	v_cmp_eq_u16_e64 s[6:7], s36, v28
	v_cmp_eq_u16_e64 s[8:9], s37, v28
	;; [unrolled: 1-line block ×3, first 2 shown]
	v_cndmask_b32_e64 v32, 4, 0, s[2:3]
	v_cmp_eq_u16_e64 s[2:3], s36, v25
	v_cmp_eq_u16_e64 s[4:5], s37, v25
	v_cndmask_b32_e64 v36, 4, 0, s[14:15]
	v_cmp_eq_u16_e64 s[18:19], s33, v29
	s_or_b64 s[6:7], s[6:7], s[8:9]
	s_or_b64 s[0:1], vcc, s[0:1]
	v_cndmask_b32_e64 v37, 4, 0, s[18:19]
	v_cndmask_b32_e64 v36, v36, 3, s[6:7]
	;; [unrolled: 1-line block ×3, first 2 shown]
	s_or_b64 s[0:1], s[2:3], s[4:5]
	v_cndmask_b32_e64 v33, v33, 3, s[0:1]
	v_cmp_eq_u16_e64 s[10:11], s36, v27
	v_cmp_eq_u16_e64 s[12:13], s37, v27
	s_or_b64 s[10:11], s[10:11], s[12:13]
	v_cmp_eq_u16_e64 s[14:15], s36, v29
	v_cmp_eq_u16_e64 s[16:17], s37, v29
	v_cndmask_b32_e64 v35, v35, 3, s[10:11]
	s_or_b64 s[14:15], s[14:15], s[16:17]
	v_cndmask_b32_e64 v37, v37, 3, s[14:15]
	s_waitcnt vmcnt(1)
	v_and_b32_e32 v30, 0xdf, v30
	v_cmp_eq_u16_e64 s[6:7], s36, v30
	v_cmp_eq_u16_e64 s[18:19], s37, v30
	;; [unrolled: 1-line block ×3, first 2 shown]
	s_or_b64 s[0:1], s[6:7], s[18:19]
	v_cmp_ne_u16_e32 vcc, s38, v30
	v_cndmask_b32_e64 v38, 4, 0, s[22:23]
	v_cndmask_b32_e64 v38, v38, 3, s[0:1]
	v_cndmask_b32_e32 v38, 2, v38, vcc
	v_cmp_ne_u16_e32 vcc, s38, v25
	s_waitcnt vmcnt(0)
	v_and_b32_e32 v31, 0xdf, v31
	v_cmp_eq_u16_e64 s[8:9], s36, v31
	v_cndmask_b32_e32 v33, 2, v33, vcc
	v_cmp_ne_u16_e32 vcc, s38, v24
	v_cmp_eq_u16_e64 s[20:21], s37, v31
	v_cmp_eq_u16_e64 s[22:23], s33, v31
	v_cndmask_b32_e32 v32, 2, v32, vcc
	v_cmp_ne_u16_e32 vcc, s38, v27
	v_cndmask_b32_e64 v39, 4, 0, s[22:23]
	s_or_b64 s[0:1], s[8:9], s[20:21]
	v_cndmask_b32_e32 v35, 2, v35, vcc
	v_cmp_ne_u16_e32 vcc, s38, v26
	v_cndmask_b32_e64 v39, v39, 3, s[0:1]
	s_nop 0
	v_cndmask_b32_e32 v34, 2, v34, vcc
	v_cmp_ne_u16_e32 vcc, s38, v29
	s_nop 1
	v_cndmask_b32_e32 v37, 2, v37, vcc
	v_cmp_ne_u16_e32 vcc, s38, v28
	;; [unrolled: 3-line block ×6, first 2 shown]
	v_lshlrev_b16_e32 v29, 8, v29
	v_or_b32_e32 v29, v28, v29
	v_cndmask_b32_e32 v26, 1, v34, vcc
	v_cmp_ne_u16_e32 vcc, s39, v27
	v_lshrrev_b32_e32 v29, 8, v29
	s_nop 0
	v_cndmask_b32_e32 v27, 1, v35, vcc
	v_cmp_ne_u16_e32 vcc, s39, v24
	v_lshlrev_b16_e32 v27, 8, v27
	v_or_b32_e32 v27, v26, v27
	v_cndmask_b32_e32 v24, 1, v32, vcc
	v_cmp_ne_u16_e32 vcc, s39, v25
	global_store_byte v[10:11], v24, off
	s_nop 0
	v_cndmask_b32_e32 v25, 1, v33, vcc
	v_cmp_ne_u16_e32 vcc, s39, v30
	v_lshlrev_b16_e32 v25, 8, v25
	v_or_b32_e32 v25, v24, v25
	v_cndmask_b32_e32 v30, 1, v38, vcc
	v_cmp_ne_u16_e32 vcc, s39, v31
	v_lshrrev_b32_e32 v10, 8, v25
	global_store_byte v[12:13], v10, off
	global_store_byte v[14:15], v26, off
	v_cndmask_b32_e32 v31, 1, v39, vcc
	v_lshlrev_b16_e32 v31, 8, v31
	v_or_b32_e32 v31, v30, v31
	v_lshrrev_b32_e32 v10, 8, v27
	global_store_byte v[16:17], v10, off
	global_store_byte v[18:19], v28, off
	;; [unrolled: 1-line block ×4, first 2 shown]
	v_lshrrev_b32_e32 v10, 8, v31
	v_cmp_eq_u64_e32 vcc, 0, v[8:9]
	global_store_byte v[6:7], v10, off
	s_or_b64 s[30:31], vcc, s[30:31]
	v_lshl_add_u64 v[6:7], v[6:7], 0, s[34:35]
	s_andn2_b64 exec, exec, s[30:31]
	s_cbranch_execnz .LBB0_3
; %bb.4:
	s_or_b64 exec, exec, s[30:31]
	v_lshlrev_b64 v[6:7], 14, v[4:5]
	v_cmp_ne_u64_e32 vcc, v[2:3], v[4:5]
	v_lshl_add_u64 v[0:1], v[6:7], 0, v[0:1]
	s_orn2_b64 s[0:1], vcc, exec
.LBB0_5:
	s_or_b64 exec, exec, s[28:29]
	s_and_b64 exec, exec, s[0:1]
	s_cbranch_execz .LBB0_44
; %bb.6:
	s_mov_b64 s[2:3], 0
	s_movk_i32 s28, 0x60
	s_movk_i32 s29, 0x66
	;; [unrolled: 1-line block ×16, first 2 shown]
	s_mov_b64 s[4:5], 0x4000
	s_branch .LBB0_8
.LBB0_7:                                ;   in Loop: Header=BB0_8 Depth=1
	s_or_b64 exec, exec, s[0:1]
	v_lshl_add_u64 v[0:1], v[0:1], 0, s[4:5]
	v_cmp_le_i64_e32 vcc, s[26:27], v[0:1]
	s_or_b64 s[2:3], vcc, s[2:3]
	global_store_byte v[2:3], v5, off
	s_andn2_b64 exec, exec, s[2:3]
	s_cbranch_execz .LBB0_44
.LBB0_8:                                ; =>This Inner Loop Header: Depth=1
	v_lshl_add_u64 v[2:3], s[24:25], 0, v[0:1]
	global_load_ubyte v4, v[2:3], off
	s_mov_b64 s[0:1], 0
	s_mov_b64 s[14:15], 0
	;; [unrolled: 1-line block ×5, first 2 shown]
	s_waitcnt vmcnt(0)
	v_cmp_lt_i16_e32 vcc, s28, v4
	s_and_saveexec_b64 s[12:13], vcc
	s_xor_b64 s[12:13], exec, s[12:13]
	s_cbranch_execnz .LBB0_17
; %bb.9:                                ;   in Loop: Header=BB0_8 Depth=1
	s_or_saveexec_b64 s[12:13], s[12:13]
	s_mov_b64 s[16:17], 0
	s_xor_b64 exec, exec, s[12:13]
	s_cbranch_execnz .LBB0_30
.LBB0_10:                               ;   in Loop: Header=BB0_8 Depth=1
	s_or_b64 exec, exec, s[12:13]
	v_mov_b32_e32 v5, 0
	s_and_saveexec_b64 s[12:13], s[14:15]
	s_cbranch_execnz .LBB0_35
.LBB0_11:                               ;   in Loop: Header=BB0_8 Depth=1
	s_or_b64 exec, exec, s[12:13]
	s_and_saveexec_b64 s[12:13], s[0:1]
	s_cbranch_execnz .LBB0_36
.LBB0_12:                               ;   in Loop: Header=BB0_8 Depth=1
	s_or_b64 exec, exec, s[12:13]
	s_and_saveexec_b64 s[0:1], s[10:11]
	s_xor_b64 s[0:1], exec, s[0:1]
	s_cbranch_execnz .LBB0_37
.LBB0_13:                               ;   in Loop: Header=BB0_8 Depth=1
	s_or_b64 exec, exec, s[0:1]
	s_mov_b64 s[0:1], 0
	s_and_saveexec_b64 s[10:11], s[16:17]
	s_cbranch_execnz .LBB0_38
.LBB0_14:                               ;   in Loop: Header=BB0_8 Depth=1
	s_or_b64 exec, exec, s[10:11]
	s_and_saveexec_b64 s[10:11], s[8:9]
	s_cbranch_execnz .LBB0_41
.LBB0_15:                               ;   in Loop: Header=BB0_8 Depth=1
	s_or_b64 exec, exec, s[10:11]
	s_and_saveexec_b64 s[8:9], s[0:1]
	s_cbranch_execnz .LBB0_42
.LBB0_16:                               ;   in Loop: Header=BB0_8 Depth=1
	s_or_b64 exec, exec, s[8:9]
	s_and_saveexec_b64 s[0:1], s[6:7]
	s_cbranch_execz .LBB0_7
	s_branch .LBB0_43
.LBB0_17:                               ;   in Loop: Header=BB0_8 Depth=1
	v_cmp_lt_i16_e32 vcc, s29, v4
	s_and_saveexec_b64 s[16:17], vcc
	s_xor_b64 s[16:17], exec, s[16:17]
	s_cbranch_execz .LBB0_23
; %bb.18:                               ;   in Loop: Header=BB0_8 Depth=1
	v_cmp_lt_i16_e32 vcc, s30, v4
	s_and_saveexec_b64 s[18:19], vcc
	s_xor_b64 s[18:19], exec, s[18:19]
; %bb.19:                               ;   in Loop: Header=BB0_8 Depth=1
	v_cmp_gt_i16_e32 vcc, s31, v4
	s_mov_b64 s[6:7], exec
	s_and_b64 s[14:15], vcc, exec
; %bb.20:                               ;   in Loop: Header=BB0_8 Depth=1
	s_andn2_saveexec_b64 s[18:19], s[18:19]
; %bb.21:                               ;   in Loop: Header=BB0_8 Depth=1
	v_cmp_eq_u16_e32 vcc, s33, v4
	s_or_b64 s[6:7], s[6:7], exec
	s_and_b64 s[10:11], vcc, exec
; %bb.22:                               ;   in Loop: Header=BB0_8 Depth=1
	s_or_b64 exec, exec, s[18:19]
	s_and_b64 s[6:7], s[6:7], exec
	s_and_b64 s[10:11], s[10:11], exec
	;; [unrolled: 1-line block ×3, first 2 shown]
.LBB0_23:                               ;   in Loop: Header=BB0_8 Depth=1
	s_andn2_saveexec_b64 s[16:17], s[16:17]
	s_cbranch_execz .LBB0_29
; %bb.24:                               ;   in Loop: Header=BB0_8 Depth=1
	v_cmp_lt_i16_e32 vcc, s34, v4
	s_mov_b64 s[18:19], s[6:7]
	s_and_saveexec_b64 s[20:21], vcc
	s_xor_b64 s[20:21], exec, s[20:21]
; %bb.25:                               ;   in Loop: Header=BB0_8 Depth=1
	v_cmp_eq_u16_e32 vcc, s35, v4
	s_or_b64 s[18:19], s[6:7], exec
	s_and_b64 s[8:9], vcc, exec
; %bb.26:                               ;   in Loop: Header=BB0_8 Depth=1
	s_andn2_saveexec_b64 s[20:21], s[20:21]
; %bb.27:                               ;   in Loop: Header=BB0_8 Depth=1
	v_cmp_ne_u16_e32 vcc, s36, v4
	s_andn2_b64 s[18:19], s[18:19], exec
	s_and_b64 s[22:23], vcc, exec
	s_or_b64 s[18:19], s[18:19], s[22:23]
; %bb.28:                               ;   in Loop: Header=BB0_8 Depth=1
	s_or_b64 exec, exec, s[20:21]
	s_andn2_b64 s[6:7], s[6:7], exec
	s_and_b64 s[18:19], s[18:19], exec
	s_or_b64 s[6:7], s[6:7], s[18:19]
	s_and_b64 s[8:9], s[8:9], exec
.LBB0_29:                               ;   in Loop: Header=BB0_8 Depth=1
	s_or_b64 exec, exec, s[16:17]
	s_and_b64 s[6:7], s[6:7], exec
	s_and_b64 s[8:9], s[8:9], exec
	;; [unrolled: 1-line block ×4, first 2 shown]
	s_or_saveexec_b64 s[12:13], s[12:13]
	s_mov_b64 s[16:17], 0
	s_xor_b64 exec, exec, s[12:13]
	s_cbranch_execz .LBB0_10
.LBB0_30:                               ;   in Loop: Header=BB0_8 Depth=1
	v_cmp_lt_i16_e32 vcc, s37, v4
	s_mov_b64 s[18:19], -1
	s_mov_b64 s[20:21], s[14:15]
	s_mov_b64 s[22:23], s[6:7]
	s_and_saveexec_b64 s[16:17], vcc
	s_cbranch_execz .LBB0_34
; %bb.31:                               ;   in Loop: Header=BB0_8 Depth=1
	v_cmp_lt_i16_e32 vcc, s38, v4
	s_mov_b64 s[0:1], -1
	s_mov_b64 s[20:21], s[14:15]
	s_mov_b64 s[18:19], s[6:7]
	s_and_saveexec_b64 s[22:23], vcc
; %bb.32:                               ;   in Loop: Header=BB0_8 Depth=1
	v_cmp_gt_i16_e32 vcc, s39, v4
	v_cmp_lt_i16_e64 s[0:1], s40, v4
	s_andn2_b64 s[18:19], s[6:7], exec
	s_and_b64 s[0:1], s[0:1], exec
	s_andn2_b64 s[20:21], s[14:15], exec
	s_and_b64 s[46:47], vcc, exec
	s_or_b64 s[18:19], s[18:19], s[0:1]
	s_xor_b64 s[0:1], exec, -1
	s_or_b64 s[20:21], s[20:21], s[46:47]
; %bb.33:                               ;   in Loop: Header=BB0_8 Depth=1
	s_or_b64 exec, exec, s[22:23]
	s_andn2_b64 s[22:23], s[6:7], exec
	s_and_b64 s[18:19], s[18:19], exec
	s_andn2_b64 s[46:47], s[14:15], exec
	s_and_b64 s[20:21], s[20:21], exec
	s_or_b64 s[22:23], s[22:23], s[18:19]
	s_xor_b64 s[18:19], exec, -1
	s_and_b64 s[0:1], s[0:1], exec
	s_or_b64 s[20:21], s[46:47], s[20:21]
.LBB0_34:                               ;   in Loop: Header=BB0_8 Depth=1
	s_or_b64 exec, exec, s[16:17]
	s_andn2_b64 s[6:7], s[6:7], exec
	s_and_b64 s[16:17], s[22:23], exec
	s_or_b64 s[6:7], s[6:7], s[16:17]
	s_and_b64 s[16:17], s[18:19], exec
	s_andn2_b64 s[14:15], s[14:15], exec
	s_and_b64 s[18:19], s[20:21], exec
	s_and_b64 s[0:1], s[0:1], exec
	s_or_b64 s[14:15], s[14:15], s[18:19]
	s_or_b64 exec, exec, s[12:13]
	v_mov_b32_e32 v5, 0
	s_and_saveexec_b64 s[12:13], s[14:15]
	s_cbranch_execz .LBB0_11
.LBB0_35:                               ;   in Loop: Header=BB0_8 Depth=1
	v_mov_b32_e32 v5, 3
	s_andn2_b64 s[6:7], s[6:7], exec
	s_or_b64 exec, exec, s[12:13]
	s_and_saveexec_b64 s[12:13], s[0:1]
	s_cbranch_execz .LBB0_12
.LBB0_36:                               ;   in Loop: Header=BB0_8 Depth=1
	v_cmp_ne_u16_e64 s[0:1], s41, v4
	v_cmp_eq_u16_e32 vcc, s41, v4
	s_andn2_b64 s[6:7], s[6:7], exec
	s_and_b64 s[0:1], s[0:1], exec
	s_or_b64 s[6:7], s[6:7], s[0:1]
	s_andn2_b64 s[0:1], s[10:11], exec
	s_and_b64 s[10:11], vcc, exec
	s_or_b64 s[10:11], s[0:1], s[10:11]
	s_or_b64 exec, exec, s[12:13]
	s_and_saveexec_b64 s[0:1], s[10:11]
	s_xor_b64 s[0:1], exec, s[0:1]
	s_cbranch_execz .LBB0_13
.LBB0_37:                               ;   in Loop: Header=BB0_8 Depth=1
	v_mov_b32_e32 v5, 2
	s_andn2_b64 s[6:7], s[6:7], exec
	s_or_b64 exec, exec, s[0:1]
	s_mov_b64 s[0:1], 0
	s_and_saveexec_b64 s[10:11], s[16:17]
	s_cbranch_execz .LBB0_14
.LBB0_38:                               ;   in Loop: Header=BB0_8 Depth=1
	v_cmp_lt_i16_e32 vcc, s42, v4
	s_mov_b64 s[0:1], -1
	s_mov_b64 s[12:13], s[8:9]
	s_mov_b64 s[14:15], s[6:7]
	s_and_saveexec_b64 s[16:17], vcc
; %bb.39:                               ;   in Loop: Header=BB0_8 Depth=1
	v_cmp_ne_u16_e64 s[0:1], s43, v4
	v_cmp_eq_u16_e32 vcc, s43, v4
	s_andn2_b64 s[12:13], s[6:7], exec
	s_and_b64 s[0:1], s[0:1], exec
	s_or_b64 s[14:15], s[12:13], s[0:1]
	s_andn2_b64 s[12:13], s[8:9], exec
	s_and_b64 s[18:19], vcc, exec
	s_xor_b64 s[0:1], exec, -1
	s_or_b64 s[12:13], s[12:13], s[18:19]
; %bb.40:                               ;   in Loop: Header=BB0_8 Depth=1
	s_or_b64 exec, exec, s[16:17]
	s_andn2_b64 s[6:7], s[6:7], exec
	s_and_b64 s[14:15], s[14:15], exec
	s_andn2_b64 s[8:9], s[8:9], exec
	s_and_b64 s[12:13], s[12:13], exec
	s_or_b64 s[6:7], s[6:7], s[14:15]
	s_and_b64 s[0:1], s[0:1], exec
	s_or_b64 s[8:9], s[8:9], s[12:13]
	s_or_b64 exec, exec, s[10:11]
	s_and_saveexec_b64 s[10:11], s[8:9]
	s_cbranch_execz .LBB0_15
.LBB0_41:                               ;   in Loop: Header=BB0_8 Depth=1
	v_mov_b32_e32 v5, 1
	s_andn2_b64 s[6:7], s[6:7], exec
	s_or_b64 exec, exec, s[10:11]
	s_and_saveexec_b64 s[8:9], s[0:1]
	s_cbranch_execz .LBB0_16
.LBB0_42:                               ;   in Loop: Header=BB0_8 Depth=1
	v_cmp_ne_u16_e32 vcc, s44, v4
	s_andn2_b64 s[0:1], s[6:7], exec
	s_and_b64 s[6:7], vcc, exec
	v_mov_b32_e32 v5, 0
	s_or_b64 s[6:7], s[0:1], s[6:7]
	s_or_b64 exec, exec, s[8:9]
	s_and_saveexec_b64 s[0:1], s[6:7]
	s_cbranch_execz .LBB0_7
.LBB0_43:                               ;   in Loop: Header=BB0_8 Depth=1
	v_mov_b32_e32 v5, 4
	s_branch .LBB0_7
.LBB0_44:
	s_endpgm
	.section	.rodata,"a",@progbits
	.p2align	6, 0x0
	.amdhsa_kernel _Z19kernel_baseToNumberPcl
		.amdhsa_group_segment_fixed_size 0
		.amdhsa_private_segment_fixed_size 0
		.amdhsa_kernarg_size 272
		.amdhsa_user_sgpr_count 2
		.amdhsa_user_sgpr_dispatch_ptr 0
		.amdhsa_user_sgpr_queue_ptr 0
		.amdhsa_user_sgpr_kernarg_segment_ptr 1
		.amdhsa_user_sgpr_dispatch_id 0
		.amdhsa_user_sgpr_kernarg_preload_length 0
		.amdhsa_user_sgpr_kernarg_preload_offset 0
		.amdhsa_user_sgpr_private_segment_size 0
		.amdhsa_uses_dynamic_stack 0
		.amdhsa_enable_private_segment 0
		.amdhsa_system_sgpr_workgroup_id_x 1
		.amdhsa_system_sgpr_workgroup_id_y 0
		.amdhsa_system_sgpr_workgroup_id_z 0
		.amdhsa_system_sgpr_workgroup_info 0
		.amdhsa_system_vgpr_workitem_id 0
		.amdhsa_next_free_vgpr 40
		.amdhsa_next_free_sgpr 48
		.amdhsa_accum_offset 40
		.amdhsa_reserve_vcc 1
		.amdhsa_float_round_mode_32 0
		.amdhsa_float_round_mode_16_64 0
		.amdhsa_float_denorm_mode_32 3
		.amdhsa_float_denorm_mode_16_64 3
		.amdhsa_dx10_clamp 1
		.amdhsa_ieee_mode 1
		.amdhsa_fp16_overflow 0
		.amdhsa_tg_split 0
		.amdhsa_exception_fp_ieee_invalid_op 0
		.amdhsa_exception_fp_denorm_src 0
		.amdhsa_exception_fp_ieee_div_zero 0
		.amdhsa_exception_fp_ieee_overflow 0
		.amdhsa_exception_fp_ieee_underflow 0
		.amdhsa_exception_fp_ieee_inexact 0
		.amdhsa_exception_int_div_zero 0
	.end_amdhsa_kernel
	.text
.Lfunc_end0:
	.size	_Z19kernel_baseToNumberPcl, .Lfunc_end0-_Z19kernel_baseToNumberPcl
                                        ; -- End function
	.set _Z19kernel_baseToNumberPcl.num_vgpr, 40
	.set _Z19kernel_baseToNumberPcl.num_agpr, 0
	.set _Z19kernel_baseToNumberPcl.numbered_sgpr, 48
	.set _Z19kernel_baseToNumberPcl.num_named_barrier, 0
	.set _Z19kernel_baseToNumberPcl.private_seg_size, 0
	.set _Z19kernel_baseToNumberPcl.uses_vcc, 1
	.set _Z19kernel_baseToNumberPcl.uses_flat_scratch, 0
	.set _Z19kernel_baseToNumberPcl.has_dyn_sized_stack, 0
	.set _Z19kernel_baseToNumberPcl.has_recursion, 0
	.set _Z19kernel_baseToNumberPcl.has_indirect_call, 0
	.section	.AMDGPU.csdata,"",@progbits
; Kernel info:
; codeLenInByte = 2040
; TotalNumSgprs: 54
; NumVgprs: 40
; NumAgprs: 0
; TotalNumVgprs: 40
; ScratchSize: 0
; MemoryBound: 0
; FloatMode: 240
; IeeeMode: 1
; LDSByteSize: 0 bytes/workgroup (compile time only)
; SGPRBlocks: 6
; VGPRBlocks: 4
; NumSGPRsForWavesPerEU: 54
; NumVGPRsForWavesPerEU: 40
; AccumOffset: 40
; Occupancy: 8
; WaveLimiterHint : 1
; COMPUTE_PGM_RSRC2:SCRATCH_EN: 0
; COMPUTE_PGM_RSRC2:USER_SGPR: 2
; COMPUTE_PGM_RSRC2:TRAP_HANDLER: 0
; COMPUTE_PGM_RSRC2:TGID_X_EN: 1
; COMPUTE_PGM_RSRC2:TGID_Y_EN: 0
; COMPUTE_PGM_RSRC2:TGID_Z_EN: 0
; COMPUTE_PGM_RSRC2:TIDIG_COMP_CNT: 0
; COMPUTE_PGM_RSRC3_GFX90A:ACCUM_OFFSET: 9
; COMPUTE_PGM_RSRC3_GFX90A:TG_SPLIT: 0
	.text
	.protected	_Z19kernel_compressDataPKiPKlPKcPjPii ; -- Begin function _Z19kernel_compressDataPKiPKlPKcPjPii
	.globl	_Z19kernel_compressDataPKiPKlPKcPjPii
	.p2align	8
	.type	_Z19kernel_compressDataPKiPKlPKcPjPii,@function
_Z19kernel_compressDataPKiPKlPKcPjPii:  ; @_Z19kernel_compressDataPKiPKlPKcPjPii
; %bb.0:
	s_load_dword s3, s[0:1], 0x3c
	s_load_dword s4, s[0:1], 0x28
	s_waitcnt lgkmcnt(0)
	s_and_b32 s3, s3, 0xffff
	s_mul_i32 s2, s2, s3
	v_add_u32_e32 v0, s2, v0
	v_cmp_gt_i32_e32 vcc, s4, v0
	s_and_saveexec_b64 s[2:3], vcc
	s_cbranch_execz .LBB1_12
; %bb.1:
	s_load_dwordx8 s[4:11], s[0:1], 0x0
	v_ashrrev_i32_e32 v1, 31, v0
	s_load_dwordx2 s[0:1], s[0:1], 0x20
	s_waitcnt lgkmcnt(0)
	v_mov_b32_e32 v2, s6
	v_mov_b32_e32 v3, s7
	v_lshl_add_u64 v[2:3], v[0:1], 3, v[2:3]
	global_load_dwordx2 v[2:3], v[2:3], off
	v_mov_b32_e32 v4, s4
	v_mov_b32_e32 v5, s5
	v_lshl_add_u64 v[4:5], v[0:1], 2, v[4:5]
	global_load_dword v8, v[4:5], off
	v_mov_b32_e32 v5, 0
	s_waitcnt vmcnt(1)
	v_ashrrev_i32_e32 v4, 31, v3
	v_lshrrev_b32_e32 v4, 28, v4
	v_lshl_add_u64 v[6:7], v[2:3], 0, v[4:5]
	v_ashrrev_i64 v[6:7], 4, v[6:7]
	s_waitcnt vmcnt(0)
	v_cmp_lt_i32_e32 vcc, 0, v8
	v_mov_b32_e32 v4, 0
	s_and_saveexec_b64 s[2:3], vcc
	s_cbranch_execz .LBB1_11
; %bb.2:
	v_ashrrev_i32_e32 v9, 31, v8
	v_lshl_add_u64 v[8:9], v[2:3], 0, v[8:9]
	s_mov_b64 s[4:5], 0
	v_mov_b32_e32 v10, 0
	v_mov_b32_e32 v4, 0
	s_branch .LBB1_5
.LBB1_3:                                ;   in Loop: Header=BB1_5 Depth=1
	s_or_b64 exec, exec, s[12:13]
.LBB1_4:                                ;   in Loop: Header=BB1_5 Depth=1
	s_or_b64 exec, exec, s[6:7]
	v_lshl_add_u64 v[2:3], v[2:3], 0, 1
	v_cmp_ge_i64_e32 vcc, v[2:3], v[8:9]
	s_or_b64 s[4:5], vcc, s[4:5]
	s_andn2_b64 exec, exec, s[4:5]
	s_cbranch_execz .LBB1_10
.LBB1_5:                                ; =>This Inner Loop Header: Depth=1
	v_lshl_add_u64 v[12:13], s[8:9], 0, v[2:3]
	global_load_ubyte v11, v[12:13], off
	s_waitcnt vmcnt(0)
	v_cmp_lt_u16_e32 vcc, 3, v11
	s_and_saveexec_b64 s[6:7], vcc
	s_xor_b64 s[6:7], exec, s[6:7]
; %bb.6:                                ;   in Loop: Header=BB1_5 Depth=1
	v_add_u32_e32 v4, 1, v4
                                        ; implicit-def: $vgpr11
; %bb.7:                                ;   in Loop: Header=BB1_5 Depth=1
	s_andn2_saveexec_b64 s[6:7], s[6:7]
	s_cbranch_execz .LBB1_4
; %bb.8:                                ;   in Loop: Header=BB1_5 Depth=1
	v_lshlrev_b32_e32 v12, 1, v5
	v_and_b32_e32 v11, 0xffff, v11
	v_sub_u32_e32 v12, 30, v12
	v_add_u32_e32 v5, 1, v5
	v_lshl_add_u32 v10, v11, v12, v10
	v_cmp_eq_u32_e32 vcc, 16, v5
	s_and_saveexec_b64 s[12:13], vcc
	s_cbranch_execz .LBB1_3
; %bb.9:                                ;   in Loop: Header=BB1_5 Depth=1
	v_lshl_add_u64 v[12:13], v[6:7], 0, 1
	v_lshl_add_u64 v[6:7], v[6:7], 2, s[10:11]
	global_store_dword v[6:7], v10, off
	v_mov_b32_e32 v5, 0
	v_mov_b64_e32 v[6:7], v[12:13]
	v_mov_b32_e32 v10, 0
	s_branch .LBB1_3
.LBB1_10:
	s_or_b64 exec, exec, s[4:5]
	v_mov_b32_e32 v5, v10
.LBB1_11:
	s_or_b64 exec, exec, s[2:3]
	v_mov_b32_e32 v2, s0
	v_mov_b32_e32 v3, s1
	v_lshl_add_u64 v[6:7], v[6:7], 2, s[10:11]
	v_lshl_add_u64 v[0:1], v[0:1], 2, v[2:3]
	global_store_dword v[6:7], v5, off
	global_store_dword v[0:1], v4, off
.LBB1_12:
	s_endpgm
	.section	.rodata,"a",@progbits
	.p2align	6, 0x0
	.amdhsa_kernel _Z19kernel_compressDataPKiPKlPKcPjPii
		.amdhsa_group_segment_fixed_size 0
		.amdhsa_private_segment_fixed_size 0
		.amdhsa_kernarg_size 304
		.amdhsa_user_sgpr_count 2
		.amdhsa_user_sgpr_dispatch_ptr 0
		.amdhsa_user_sgpr_queue_ptr 0
		.amdhsa_user_sgpr_kernarg_segment_ptr 1
		.amdhsa_user_sgpr_dispatch_id 0
		.amdhsa_user_sgpr_kernarg_preload_length 0
		.amdhsa_user_sgpr_kernarg_preload_offset 0
		.amdhsa_user_sgpr_private_segment_size 0
		.amdhsa_uses_dynamic_stack 0
		.amdhsa_enable_private_segment 0
		.amdhsa_system_sgpr_workgroup_id_x 1
		.amdhsa_system_sgpr_workgroup_id_y 0
		.amdhsa_system_sgpr_workgroup_id_z 0
		.amdhsa_system_sgpr_workgroup_info 0
		.amdhsa_system_vgpr_workitem_id 0
		.amdhsa_next_free_vgpr 14
		.amdhsa_next_free_sgpr 14
		.amdhsa_accum_offset 16
		.amdhsa_reserve_vcc 1
		.amdhsa_float_round_mode_32 0
		.amdhsa_float_round_mode_16_64 0
		.amdhsa_float_denorm_mode_32 3
		.amdhsa_float_denorm_mode_16_64 3
		.amdhsa_dx10_clamp 1
		.amdhsa_ieee_mode 1
		.amdhsa_fp16_overflow 0
		.amdhsa_tg_split 0
		.amdhsa_exception_fp_ieee_invalid_op 0
		.amdhsa_exception_fp_denorm_src 0
		.amdhsa_exception_fp_ieee_div_zero 0
		.amdhsa_exception_fp_ieee_overflow 0
		.amdhsa_exception_fp_ieee_underflow 0
		.amdhsa_exception_fp_ieee_inexact 0
		.amdhsa_exception_int_div_zero 0
	.end_amdhsa_kernel
	.text
.Lfunc_end1:
	.size	_Z19kernel_compressDataPKiPKlPKcPjPii, .Lfunc_end1-_Z19kernel_compressDataPKiPKlPKcPjPii
                                        ; -- End function
	.set _Z19kernel_compressDataPKiPKlPKcPjPii.num_vgpr, 14
	.set _Z19kernel_compressDataPKiPKlPKcPjPii.num_agpr, 0
	.set _Z19kernel_compressDataPKiPKlPKcPjPii.numbered_sgpr, 14
	.set _Z19kernel_compressDataPKiPKlPKcPjPii.num_named_barrier, 0
	.set _Z19kernel_compressDataPKiPKlPKcPjPii.private_seg_size, 0
	.set _Z19kernel_compressDataPKiPKlPKcPjPii.uses_vcc, 1
	.set _Z19kernel_compressDataPKiPKlPKcPjPii.uses_flat_scratch, 0
	.set _Z19kernel_compressDataPKiPKlPKcPjPii.has_dyn_sized_stack, 0
	.set _Z19kernel_compressDataPKiPKlPKcPjPii.has_recursion, 0
	.set _Z19kernel_compressDataPKiPKlPKcPjPii.has_indirect_call, 0
	.section	.AMDGPU.csdata,"",@progbits
; Kernel info:
; codeLenInByte = 412
; TotalNumSgprs: 20
; NumVgprs: 14
; NumAgprs: 0
; TotalNumVgprs: 14
; ScratchSize: 0
; MemoryBound: 0
; FloatMode: 240
; IeeeMode: 1
; LDSByteSize: 0 bytes/workgroup (compile time only)
; SGPRBlocks: 2
; VGPRBlocks: 1
; NumSGPRsForWavesPerEU: 20
; NumVGPRsForWavesPerEU: 14
; AccumOffset: 16
; Occupancy: 8
; WaveLimiterHint : 0
; COMPUTE_PGM_RSRC2:SCRATCH_EN: 0
; COMPUTE_PGM_RSRC2:USER_SGPR: 2
; COMPUTE_PGM_RSRC2:TRAP_HANDLER: 0
; COMPUTE_PGM_RSRC2:TGID_X_EN: 1
; COMPUTE_PGM_RSRC2:TGID_Y_EN: 0
; COMPUTE_PGM_RSRC2:TGID_Z_EN: 0
; COMPUTE_PGM_RSRC2:TIDIG_COMP_CNT: 0
; COMPUTE_PGM_RSRC3_GFX90A:ACCUM_OFFSET: 3
; COMPUTE_PGM_RSRC3_GFX90A:TG_SPLIT: 0
	.text
	.protected	_Z19kernel_createIndex4PKcPKiPKlPtS5_PlPii ; -- Begin function _Z19kernel_createIndex4PKcPKiPKlPtS5_PlPii
	.globl	_Z19kernel_createIndex4PKcPKiPKlPtS5_PlPii
	.p2align	8
	.type	_Z19kernel_createIndex4PKcPKiPKlPtS5_PlPii,@function
_Z19kernel_createIndex4PKcPKiPKlPtS5_PlPii: ; @_Z19kernel_createIndex4PKcPKiPKlPtS5_PlPii
; %bb.0:
	s_load_dword s3, s[0:1], 0x4c
	s_load_dword s4, s[0:1], 0x38
	s_waitcnt lgkmcnt(0)
	s_and_b32 s3, s3, 0xffff
	s_mul_i32 s2, s2, s3
	v_add_u32_e32 v4, s2, v0
	v_cmp_gt_i32_e32 vcc, s4, v4
	s_and_saveexec_b64 s[2:3], vcc
	s_cbranch_execz .LBB2_20
; %bb.1:
	s_load_dwordx8 s[4:11], s[0:1], 0x0
	v_ashrrev_i32_e32 v5, 31, v4
	v_mov_b32_e32 v3, 0
	v_mov_b64_e32 v[6:7], 0
	v_mov_b32_e32 v2, 0
	s_waitcnt lgkmcnt(0)
	v_mov_b32_e32 v0, s6
	v_mov_b32_e32 v1, s7
	v_lshl_add_u64 v[0:1], v[4:5], 2, v[0:1]
	global_load_dword v10, v[0:1], off
	v_mov_b32_e32 v1, 0
	v_mov_b32_e32 v0, 0
	s_waitcnt vmcnt(0)
	v_cmp_lt_i32_e32 vcc, 0, v10
	s_and_saveexec_b64 s[2:3], vcc
	s_cbranch_execz .LBB2_19
; %bb.2:
	v_mov_b32_e32 v0, s8
	v_mov_b32_e32 v1, s9
	v_lshl_add_u64 v[0:1], v[4:5], 3, v[0:1]
	global_load_dword v8, v[0:1], off
	v_mov_b32_e32 v12, s10
	v_mov_b32_e32 v13, s11
	;; [unrolled: 1-line block ×4, first 2 shown]
	s_mov_b64 s[6:7], 0
	s_movk_i32 s12, 0xc0
	v_mov_b32_e32 v7, 3
	v_mov_b32_e32 v14, 4
	;; [unrolled: 1-line block ×7, first 2 shown]
	s_waitcnt vmcnt(0)
	v_ashrrev_i32_e32 v9, 31, v8
	v_add_u32_e32 v16, v10, v8
	v_lshl_add_u64 v[10:11], s[4:5], 0, v[8:9]
	v_lshl_add_u64 v[12:13], v[8:9], 1, v[12:13]
	s_branch .LBB2_5
.LBB2_3:                                ;   in Loop: Header=BB2_5 Depth=1
	s_or_b64 exec, exec, s[8:9]
.LBB2_4:                                ;   in Loop: Header=BB2_5 Depth=1
	s_or_b64 exec, exec, s[4:5]
	v_lshlrev_b16_e32 v19, 4, v14
	v_lshlrev_b16_e32 v18, 6, v17
	v_and_b32_e32 v19, 48, v19
	v_lshlrev_b16_e32 v20, 2, v15
	v_bitop3_b16 v18, v18, v19, s12 bitop3:0xec
	v_max_i16_sdwa v19, sext(v14), v7 dst_sel:DWORD dst_unused:UNUSED_PAD src0_sel:BYTE_0 src1_sel:DWORD
	v_and_b32_e32 v20, 12, v20
	v_max_i16_sdwa v21, sext(v15), v7 dst_sel:DWORD dst_unused:UNUSED_PAD src0_sel:BYTE_0 src1_sel:DWORD
	v_and_b32_e32 v22, 3, v9
	v_max_i16_sdwa v17, sext(v17), v7 dst_sel:DWORD dst_unused:UNUSED_PAD src0_sel:BYTE_0 src1_sel:DWORD
	v_bitop3_b16 v18, v18, v22, v20 bitop3:0xfe
	v_max_i16_sdwa v20, sext(v9), v7 dst_sel:DWORD dst_unused:UNUSED_PAD src0_sel:BYTE_0 src1_sel:DWORD
	v_add_u16_e32 v19, v19, v21
	v_add3_u32 v17, v17, v19, -12
	v_sub_u32_e32 v19, 0, v20
	v_cmp_eq_u32_e32 vcc, v17, v19
	v_add_u32_e32 v8, 1, v8
	v_lshl_add_u64 v[10:11], v[10:11], 0, 1
	v_cndmask_b32_e32 v17, -1, v18, vcc
	v_addc_co_u32_e32 v6, vcc, 0, v6, vcc
	v_cmp_ge_i32_e32 vcc, v8, v16
	global_store_short v[12:13], v17, off
	v_lshl_add_u64 v[12:13], v[12:13], 0, 2
	s_or_b64 s[6:7], vcc, s[6:7]
	v_mov_b32_e32 v17, v14
	v_mov_b32_e32 v14, v15
	;; [unrolled: 1-line block ×3, first 2 shown]
	s_andn2_b64 exec, exec, s[6:7]
	s_cbranch_execz .LBB2_18
.LBB2_5:                                ; =>This Inner Loop Header: Depth=1
	global_load_ubyte v9, v[10:11], off
	s_waitcnt vmcnt(0)
	v_cmp_lt_i16_e32 vcc, 1, v9
	s_and_saveexec_b64 s[4:5], vcc
	s_xor_b64 s[4:5], exec, s[4:5]
	s_cbranch_execz .LBB2_13
; %bb.6:                                ;   in Loop: Header=BB2_5 Depth=1
	v_cmp_lt_i16_e32 vcc, 2, v9
	s_and_saveexec_b64 s[8:9], vcc
	s_xor_b64 s[8:9], exec, s[8:9]
	s_cbranch_execz .LBB2_10
; %bb.7:                                ;   in Loop: Header=BB2_5 Depth=1
	v_cmp_eq_u16_e32 vcc, 3, v9
	s_and_saveexec_b64 s[10:11], vcc
; %bb.8:                                ;   in Loop: Header=BB2_5 Depth=1
	v_add_u32_e32 v3, 1, v3
; %bb.9:                                ;   in Loop: Header=BB2_5 Depth=1
	s_or_b64 exec, exec, s[10:11]
.LBB2_10:                               ;   in Loop: Header=BB2_5 Depth=1
	s_andn2_saveexec_b64 s[8:9], s[8:9]
; %bb.11:                               ;   in Loop: Header=BB2_5 Depth=1
	v_add_u32_e32 v2, 1, v2
; %bb.12:                               ;   in Loop: Header=BB2_5 Depth=1
	s_or_b64 exec, exec, s[8:9]
.LBB2_13:                               ;   in Loop: Header=BB2_5 Depth=1
	s_andn2_saveexec_b64 s[4:5], s[4:5]
	s_cbranch_execz .LBB2_4
; %bb.14:                               ;   in Loop: Header=BB2_5 Depth=1
	v_cmp_lt_i16_e32 vcc, 0, v9
	s_and_saveexec_b64 s[8:9], vcc
	s_xor_b64 s[8:9], exec, s[8:9]
; %bb.15:                               ;   in Loop: Header=BB2_5 Depth=1
	v_add_u32_e32 v1, 1, v1
; %bb.16:                               ;   in Loop: Header=BB2_5 Depth=1
	s_andn2_saveexec_b64 s[8:9], s[8:9]
	s_cbranch_execz .LBB2_3
; %bb.17:                               ;   in Loop: Header=BB2_5 Depth=1
	v_add_u32_e32 v0, 1, v0
	s_branch .LBB2_3
.LBB2_18:
	s_or_b64 exec, exec, s[6:7]
	v_mov_b32_e32 v7, 0
.LBB2_19:
	s_or_b64 exec, exec, s[2:3]
	s_load_dwordx4 s[4:7], s[0:1], 0x28
	v_lshlrev_b32_e32 v8, 2, v4
	v_ashrrev_i32_e32 v9, 31, v8
	s_waitcnt lgkmcnt(0)
	v_mov_b32_e32 v10, s4
	v_mov_b32_e32 v11, s5
	v_mov_b32_e32 v12, s6
	v_mov_b32_e32 v13, s7
	v_lshl_add_u64 v[4:5], v[4:5], 3, v[10:11]
	global_store_dwordx2 v[4:5], v[6:7], off
	v_lshl_add_u64 v[4:5], v[8:9], 2, v[12:13]
	global_store_dwordx4 v[4:5], v[0:3], off
.LBB2_20:
	s_endpgm
	.section	.rodata,"a",@progbits
	.p2align	6, 0x0
	.amdhsa_kernel _Z19kernel_createIndex4PKcPKiPKlPtS5_PlPii
		.amdhsa_group_segment_fixed_size 0
		.amdhsa_private_segment_fixed_size 0
		.amdhsa_kernarg_size 320
		.amdhsa_user_sgpr_count 2
		.amdhsa_user_sgpr_dispatch_ptr 0
		.amdhsa_user_sgpr_queue_ptr 0
		.amdhsa_user_sgpr_kernarg_segment_ptr 1
		.amdhsa_user_sgpr_dispatch_id 0
		.amdhsa_user_sgpr_kernarg_preload_length 0
		.amdhsa_user_sgpr_kernarg_preload_offset 0
		.amdhsa_user_sgpr_private_segment_size 0
		.amdhsa_uses_dynamic_stack 0
		.amdhsa_enable_private_segment 0
		.amdhsa_system_sgpr_workgroup_id_x 1
		.amdhsa_system_sgpr_workgroup_id_y 0
		.amdhsa_system_sgpr_workgroup_id_z 0
		.amdhsa_system_sgpr_workgroup_info 0
		.amdhsa_system_vgpr_workitem_id 0
		.amdhsa_next_free_vgpr 23
		.amdhsa_next_free_sgpr 13
		.amdhsa_accum_offset 24
		.amdhsa_reserve_vcc 1
		.amdhsa_float_round_mode_32 0
		.amdhsa_float_round_mode_16_64 0
		.amdhsa_float_denorm_mode_32 3
		.amdhsa_float_denorm_mode_16_64 3
		.amdhsa_dx10_clamp 1
		.amdhsa_ieee_mode 1
		.amdhsa_fp16_overflow 0
		.amdhsa_tg_split 0
		.amdhsa_exception_fp_ieee_invalid_op 0
		.amdhsa_exception_fp_denorm_src 0
		.amdhsa_exception_fp_ieee_div_zero 0
		.amdhsa_exception_fp_ieee_overflow 0
		.amdhsa_exception_fp_ieee_underflow 0
		.amdhsa_exception_fp_ieee_inexact 0
		.amdhsa_exception_int_div_zero 0
	.end_amdhsa_kernel
	.text
.Lfunc_end2:
	.size	_Z19kernel_createIndex4PKcPKiPKlPtS5_PlPii, .Lfunc_end2-_Z19kernel_createIndex4PKcPKiPKlPtS5_PlPii
                                        ; -- End function
	.set _Z19kernel_createIndex4PKcPKiPKlPtS5_PlPii.num_vgpr, 23
	.set _Z19kernel_createIndex4PKcPKiPKlPtS5_PlPii.num_agpr, 0
	.set _Z19kernel_createIndex4PKcPKiPKlPtS5_PlPii.numbered_sgpr, 13
	.set _Z19kernel_createIndex4PKcPKiPKlPtS5_PlPii.num_named_barrier, 0
	.set _Z19kernel_createIndex4PKcPKiPKlPtS5_PlPii.private_seg_size, 0
	.set _Z19kernel_createIndex4PKcPKiPKlPtS5_PlPii.uses_vcc, 1
	.set _Z19kernel_createIndex4PKcPKiPKlPtS5_PlPii.uses_flat_scratch, 0
	.set _Z19kernel_createIndex4PKcPKiPKlPtS5_PlPii.has_dyn_sized_stack, 0
	.set _Z19kernel_createIndex4PKcPKiPKlPtS5_PlPii.has_recursion, 0
	.set _Z19kernel_createIndex4PKcPKiPKlPtS5_PlPii.has_indirect_call, 0
	.section	.AMDGPU.csdata,"",@progbits
; Kernel info:
; codeLenInByte = 592
; TotalNumSgprs: 19
; NumVgprs: 23
; NumAgprs: 0
; TotalNumVgprs: 23
; ScratchSize: 0
; MemoryBound: 0
; FloatMode: 240
; IeeeMode: 1
; LDSByteSize: 0 bytes/workgroup (compile time only)
; SGPRBlocks: 2
; VGPRBlocks: 2
; NumSGPRsForWavesPerEU: 19
; NumVGPRsForWavesPerEU: 23
; AccumOffset: 24
; Occupancy: 8
; WaveLimiterHint : 0
; COMPUTE_PGM_RSRC2:SCRATCH_EN: 0
; COMPUTE_PGM_RSRC2:USER_SGPR: 2
; COMPUTE_PGM_RSRC2:TRAP_HANDLER: 0
; COMPUTE_PGM_RSRC2:TGID_X_EN: 1
; COMPUTE_PGM_RSRC2:TGID_Y_EN: 0
; COMPUTE_PGM_RSRC2:TGID_Z_EN: 0
; COMPUTE_PGM_RSRC2:TIDIG_COMP_CNT: 0
; COMPUTE_PGM_RSRC3_GFX90A:ACCUM_OFFSET: 5
; COMPUTE_PGM_RSRC3_GFX90A:TG_SPLIT: 0
	.text
	.protected	_Z19kernel_createIndex5PKcPKiPKlPtS5_PlPii ; -- Begin function _Z19kernel_createIndex5PKcPKiPKlPtS5_PlPii
	.globl	_Z19kernel_createIndex5PKcPKiPKlPtS5_PlPii
	.p2align	8
	.type	_Z19kernel_createIndex5PKcPKiPKlPtS5_PlPii,@function
_Z19kernel_createIndex5PKcPKiPKlPtS5_PlPii: ; @_Z19kernel_createIndex5PKcPKiPKlPtS5_PlPii
; %bb.0:
	s_load_dword s3, s[0:1], 0x4c
	s_load_dword s4, s[0:1], 0x38
	s_waitcnt lgkmcnt(0)
	s_and_b32 s3, s3, 0xffff
	s_mul_i32 s2, s2, s3
	v_add_u32_e32 v4, s2, v0
	v_cmp_gt_i32_e32 vcc, s4, v4
	s_and_saveexec_b64 s[2:3], vcc
	s_cbranch_execz .LBB3_20
; %bb.1:
	s_load_dwordx8 s[4:11], s[0:1], 0x0
	v_ashrrev_i32_e32 v5, 31, v4
	v_mov_b32_e32 v3, 0
	v_mov_b64_e32 v[6:7], 0
	v_mov_b32_e32 v2, 0
	s_waitcnt lgkmcnt(0)
	v_mov_b32_e32 v0, s6
	v_mov_b32_e32 v1, s7
	v_lshl_add_u64 v[0:1], v[4:5], 2, v[0:1]
	global_load_dword v10, v[0:1], off
	v_mov_b32_e32 v1, 0
	v_mov_b32_e32 v0, 0
	s_waitcnt vmcnt(0)
	v_cmp_lt_i32_e32 vcc, 0, v10
	s_and_saveexec_b64 s[2:3], vcc
	s_cbranch_execz .LBB3_19
; %bb.2:
	v_mov_b32_e32 v0, s8
	v_mov_b32_e32 v1, s9
	v_lshl_add_u64 v[0:1], v[4:5], 3, v[0:1]
	global_load_dword v8, v[0:1], off
	v_mov_b32_e32 v12, s10
	v_mov_b32_e32 v13, s11
	;; [unrolled: 1-line block ×4, first 2 shown]
	s_mov_b64 s[6:7], 0
	s_mov_b32 s12, 0xc0c0004
	s_movk_i32 s13, 0xff
	v_mov_b32_e32 v7, 3
	v_mov_b32_e32 v14, 8
	;; [unrolled: 1-line block ×10, first 2 shown]
	s_waitcnt vmcnt(0)
	v_ashrrev_i32_e32 v9, 31, v8
	v_add_u32_e32 v16, v10, v8
	v_lshl_add_u64 v[10:11], s[4:5], 0, v[8:9]
	v_lshl_add_u64 v[12:13], v[8:9], 1, v[12:13]
	s_branch .LBB3_5
.LBB3_3:                                ;   in Loop: Header=BB3_5 Depth=1
	s_or_b64 exec, exec, s[8:9]
.LBB3_4:                                ;   in Loop: Header=BB3_5 Depth=1
	s_or_b64 exec, exec, s[4:5]
	v_lshlrev_b16_e32 v21, 8, v15
	v_bitop3_b16 v21, v19, v21, s13 bitop3:0xec
	v_perm_b32 v20, v20, v17, s12
	v_lshlrev_b32_e32 v22, 16, v21
	v_or_b32_e32 v20, v20, v22
	v_lshrrev_b32_e32 v20, 8, v20
	v_lshrrev_b32_e32 v22, 24, v22
	v_lshlrev_b16_e32 v23, 8, v19
	v_lshlrev_b16_e32 v24, 8, v20
	;; [unrolled: 1-line block ×4, first 2 shown]
	v_and_b32_e32 v24, 0x300, v24
	v_and_b32_e32 v19, 0xc0, v19
	;; [unrolled: 1-line block ×3, first 2 shown]
	v_max_i16_sdwa v21, sext(v21), v7 dst_sel:DWORD dst_unused:UNUSED_PAD src0_sel:BYTE_0 src1_sel:DWORD
	v_bitop3_b16 v19, v24, v25, v19 bitop3:0xfe
	v_max_i16_sdwa v22, sext(v22), v7 dst_sel:DWORD dst_unused:UNUSED_PAD src0_sel:BYTE_0 src1_sel:DWORD
	v_lshlrev_b16_e32 v24, 2, v9
	v_max_i16_sdwa v20, sext(v20), v7 dst_sel:DWORD dst_unused:UNUSED_PAD src0_sel:BYTE_0 src1_sel:DWORD
	v_and_b32_e32 v24, 12, v24
	v_and_b32_e32 v26, 3, v18
	v_add_u16_e32 v21, v21, v22
	v_max_i16_sdwa v25, sext(v9), v7 dst_sel:DWORD dst_unused:UNUSED_PAD src0_sel:BYTE_0 src1_sel:DWORD
	v_bitop3_b16 v19, v19, v26, v24 bitop3:0xfe
	v_max_i16_sdwa v24, sext(v18), v7 dst_sel:DWORD dst_unused:UNUSED_PAD src0_sel:BYTE_0 src1_sel:DWORD
	v_add_u32_e32 v20, v20, v21
	v_add3_u32 v20, v20, v25, -15
	v_sub_u32_e32 v21, 0, v24
	v_cmp_eq_u32_e32 vcc, v20, v21
	v_lshlrev_b16_e32 v9, 8, v9
	v_lshrrev_b32_sdwa v20, v14, v23 dst_sel:BYTE_1 dst_unused:UNUSED_PAD src0_sel:DWORD src1_sel:DWORD
	v_cndmask_b32_e32 v19, -1, v19, vcc
	global_store_short v[12:13], v19, off
	v_bitop3_b16 v19, v15, v9, s13 bitop3:0xec
	v_lshlrev_b32_e32 v9, 16, v19
	v_addc_co_u32_e32 v6, vcc, 0, v6, vcc
	v_add_u32_e32 v8, 1, v8
	v_or_b32_e32 v15, v20, v9
	v_lshrrev_b32_e32 v21, 8, v15
	v_cmp_ge_i32_e32 vcc, v8, v16
	v_bitop3_b16 v20, v17, v20, s13 bitop3:0xec
	v_lshrrev_b32_e32 v15, 24, v9
	v_lshl_add_u64 v[10:11], v[10:11], 0, 1
	v_lshl_add_u64 v[12:13], v[12:13], 0, 2
	s_or_b64 s[6:7], vcc, s[6:7]
	v_mov_b32_e32 v17, v21
	s_andn2_b64 exec, exec, s[6:7]
	s_cbranch_execz .LBB3_18
.LBB3_5:                                ; =>This Inner Loop Header: Depth=1
	v_mov_b32_e32 v9, v18
	global_load_ubyte v18, v[10:11], off
	s_waitcnt vmcnt(0)
	v_cmp_lt_i16_e32 vcc, 1, v18
	s_and_saveexec_b64 s[4:5], vcc
	s_xor_b64 s[4:5], exec, s[4:5]
	s_cbranch_execz .LBB3_13
; %bb.6:                                ;   in Loop: Header=BB3_5 Depth=1
	v_cmp_lt_i16_e32 vcc, 2, v18
	s_and_saveexec_b64 s[8:9], vcc
	s_xor_b64 s[8:9], exec, s[8:9]
	s_cbranch_execz .LBB3_10
; %bb.7:                                ;   in Loop: Header=BB3_5 Depth=1
	v_cmp_eq_u16_e32 vcc, 3, v18
	s_and_saveexec_b64 s[10:11], vcc
; %bb.8:                                ;   in Loop: Header=BB3_5 Depth=1
	v_add_u32_e32 v3, 1, v3
; %bb.9:                                ;   in Loop: Header=BB3_5 Depth=1
	s_or_b64 exec, exec, s[10:11]
.LBB3_10:                               ;   in Loop: Header=BB3_5 Depth=1
	s_andn2_saveexec_b64 s[8:9], s[8:9]
; %bb.11:                               ;   in Loop: Header=BB3_5 Depth=1
	v_add_u32_e32 v2, 1, v2
; %bb.12:                               ;   in Loop: Header=BB3_5 Depth=1
	s_or_b64 exec, exec, s[8:9]
.LBB3_13:                               ;   in Loop: Header=BB3_5 Depth=1
	s_andn2_saveexec_b64 s[4:5], s[4:5]
	s_cbranch_execz .LBB3_4
; %bb.14:                               ;   in Loop: Header=BB3_5 Depth=1
	v_cmp_lt_i16_e32 vcc, 0, v18
	s_and_saveexec_b64 s[8:9], vcc
	s_xor_b64 s[8:9], exec, s[8:9]
; %bb.15:                               ;   in Loop: Header=BB3_5 Depth=1
	v_add_u32_e32 v1, 1, v1
; %bb.16:                               ;   in Loop: Header=BB3_5 Depth=1
	s_andn2_saveexec_b64 s[8:9], s[8:9]
	s_cbranch_execz .LBB3_3
; %bb.17:                               ;   in Loop: Header=BB3_5 Depth=1
	v_add_u32_e32 v0, 1, v0
	s_branch .LBB3_3
.LBB3_18:
	s_or_b64 exec, exec, s[6:7]
	v_mov_b32_e32 v7, 0
.LBB3_19:
	s_or_b64 exec, exec, s[2:3]
	s_load_dwordx4 s[4:7], s[0:1], 0x28
	v_lshlrev_b32_e32 v8, 2, v4
	v_ashrrev_i32_e32 v9, 31, v8
	s_waitcnt lgkmcnt(0)
	v_mov_b32_e32 v10, s4
	v_mov_b32_e32 v11, s5
	;; [unrolled: 1-line block ×4, first 2 shown]
	v_lshl_add_u64 v[4:5], v[4:5], 3, v[10:11]
	global_store_dwordx2 v[4:5], v[6:7], off
	v_lshl_add_u64 v[4:5], v[8:9], 2, v[12:13]
	global_store_dwordx4 v[4:5], v[0:3], off
.LBB3_20:
	s_endpgm
	.section	.rodata,"a",@progbits
	.p2align	6, 0x0
	.amdhsa_kernel _Z19kernel_createIndex5PKcPKiPKlPtS5_PlPii
		.amdhsa_group_segment_fixed_size 0
		.amdhsa_private_segment_fixed_size 0
		.amdhsa_kernarg_size 320
		.amdhsa_user_sgpr_count 2
		.amdhsa_user_sgpr_dispatch_ptr 0
		.amdhsa_user_sgpr_queue_ptr 0
		.amdhsa_user_sgpr_kernarg_segment_ptr 1
		.amdhsa_user_sgpr_dispatch_id 0
		.amdhsa_user_sgpr_kernarg_preload_length 0
		.amdhsa_user_sgpr_kernarg_preload_offset 0
		.amdhsa_user_sgpr_private_segment_size 0
		.amdhsa_uses_dynamic_stack 0
		.amdhsa_enable_private_segment 0
		.amdhsa_system_sgpr_workgroup_id_x 1
		.amdhsa_system_sgpr_workgroup_id_y 0
		.amdhsa_system_sgpr_workgroup_id_z 0
		.amdhsa_system_sgpr_workgroup_info 0
		.amdhsa_system_vgpr_workitem_id 0
		.amdhsa_next_free_vgpr 27
		.amdhsa_next_free_sgpr 14
		.amdhsa_accum_offset 28
		.amdhsa_reserve_vcc 1
		.amdhsa_float_round_mode_32 0
		.amdhsa_float_round_mode_16_64 0
		.amdhsa_float_denorm_mode_32 3
		.amdhsa_float_denorm_mode_16_64 3
		.amdhsa_dx10_clamp 1
		.amdhsa_ieee_mode 1
		.amdhsa_fp16_overflow 0
		.amdhsa_tg_split 0
		.amdhsa_exception_fp_ieee_invalid_op 0
		.amdhsa_exception_fp_denorm_src 0
		.amdhsa_exception_fp_ieee_div_zero 0
		.amdhsa_exception_fp_ieee_overflow 0
		.amdhsa_exception_fp_ieee_underflow 0
		.amdhsa_exception_fp_ieee_inexact 0
		.amdhsa_exception_int_div_zero 0
	.end_amdhsa_kernel
	.text
.Lfunc_end3:
	.size	_Z19kernel_createIndex5PKcPKiPKlPtS5_PlPii, .Lfunc_end3-_Z19kernel_createIndex5PKcPKiPKlPtS5_PlPii
                                        ; -- End function
	.set _Z19kernel_createIndex5PKcPKiPKlPtS5_PlPii.num_vgpr, 27
	.set _Z19kernel_createIndex5PKcPKiPKlPtS5_PlPii.num_agpr, 0
	.set _Z19kernel_createIndex5PKcPKiPKlPtS5_PlPii.numbered_sgpr, 14
	.set _Z19kernel_createIndex5PKcPKiPKlPtS5_PlPii.num_named_barrier, 0
	.set _Z19kernel_createIndex5PKcPKiPKlPtS5_PlPii.private_seg_size, 0
	.set _Z19kernel_createIndex5PKcPKiPKlPtS5_PlPii.uses_vcc, 1
	.set _Z19kernel_createIndex5PKcPKiPKlPtS5_PlPii.uses_flat_scratch, 0
	.set _Z19kernel_createIndex5PKcPKiPKlPtS5_PlPii.has_dyn_sized_stack, 0
	.set _Z19kernel_createIndex5PKcPKiPKlPtS5_PlPii.has_recursion, 0
	.set _Z19kernel_createIndex5PKcPKiPKlPtS5_PlPii.has_indirect_call, 0
	.section	.AMDGPU.csdata,"",@progbits
; Kernel info:
; codeLenInByte = 724
; TotalNumSgprs: 20
; NumVgprs: 27
; NumAgprs: 0
; TotalNumVgprs: 27
; ScratchSize: 0
; MemoryBound: 0
; FloatMode: 240
; IeeeMode: 1
; LDSByteSize: 0 bytes/workgroup (compile time only)
; SGPRBlocks: 2
; VGPRBlocks: 3
; NumSGPRsForWavesPerEU: 20
; NumVGPRsForWavesPerEU: 27
; AccumOffset: 28
; Occupancy: 8
; WaveLimiterHint : 0
; COMPUTE_PGM_RSRC2:SCRATCH_EN: 0
; COMPUTE_PGM_RSRC2:USER_SGPR: 2
; COMPUTE_PGM_RSRC2:TRAP_HANDLER: 0
; COMPUTE_PGM_RSRC2:TGID_X_EN: 1
; COMPUTE_PGM_RSRC2:TGID_Y_EN: 0
; COMPUTE_PGM_RSRC2:TGID_Z_EN: 0
; COMPUTE_PGM_RSRC2:TIDIG_COMP_CNT: 0
; COMPUTE_PGM_RSRC3_GFX90A:ACCUM_OFFSET: 6
; COMPUTE_PGM_RSRC3_GFX90A:TG_SPLIT: 0
	.text
	.protected	_Z19kernel_createIndex6PKcPKiPKlPtS5_PlPii ; -- Begin function _Z19kernel_createIndex6PKcPKiPKlPtS5_PlPii
	.globl	_Z19kernel_createIndex6PKcPKiPKlPtS5_PlPii
	.p2align	8
	.type	_Z19kernel_createIndex6PKcPKiPKlPtS5_PlPii,@function
_Z19kernel_createIndex6PKcPKiPKlPtS5_PlPii: ; @_Z19kernel_createIndex6PKcPKiPKlPtS5_PlPii
; %bb.0:
	s_load_dword s3, s[0:1], 0x4c
	s_load_dword s4, s[0:1], 0x38
	s_waitcnt lgkmcnt(0)
	s_and_b32 s3, s3, 0xffff
	s_mul_i32 s2, s2, s3
	v_add_u32_e32 v4, s2, v0
	v_cmp_gt_i32_e32 vcc, s4, v4
	s_and_saveexec_b64 s[2:3], vcc
	s_cbranch_execz .LBB4_20
; %bb.1:
	s_load_dwordx8 s[4:11], s[0:1], 0x0
	v_ashrrev_i32_e32 v5, 31, v4
	v_mov_b32_e32 v3, 0
	v_mov_b64_e32 v[6:7], 0
	v_mov_b32_e32 v2, 0
	s_waitcnt lgkmcnt(0)
	v_mov_b32_e32 v0, s6
	v_mov_b32_e32 v1, s7
	v_lshl_add_u64 v[0:1], v[4:5], 2, v[0:1]
	global_load_dword v10, v[0:1], off
	v_mov_b32_e32 v1, 0
	v_mov_b32_e32 v0, 0
	s_waitcnt vmcnt(0)
	v_cmp_lt_i32_e32 vcc, 0, v10
	s_and_saveexec_b64 s[2:3], vcc
	s_cbranch_execz .LBB4_19
; %bb.2:
	v_mov_b32_e32 v0, s8
	v_mov_b32_e32 v1, s9
	v_lshl_add_u64 v[0:1], v[4:5], 3, v[0:1]
	global_load_dword v8, v[0:1], off
	v_mov_b32_e32 v12, s10
	v_mov_b32_e32 v13, s11
	;; [unrolled: 1-line block ×4, first 2 shown]
	s_mov_b64 s[6:7], 0
	s_mov_b32 s12, 0xc0c0004
	s_movk_i32 s13, 0xff
	s_movk_i32 s14, 0xc00
	s_mov_b32 s15, 0x5040100
	s_mov_b32 s16, 0x20004
	s_movk_i32 s17, 0xffee
	v_mov_b32_e32 v7, 3
	v_mov_b32_e32 v14, 8
	;; [unrolled: 1-line block ×11, first 2 shown]
	s_waitcnt vmcnt(0)
	v_ashrrev_i32_e32 v9, 31, v8
	v_add_u32_e32 v15, v10, v8
	v_lshl_add_u64 v[10:11], s[4:5], 0, v[8:9]
	v_lshl_add_u64 v[12:13], v[8:9], 1, v[12:13]
	s_branch .LBB4_5
.LBB4_3:                                ;   in Loop: Header=BB4_5 Depth=1
	s_or_b64 exec, exec, s[8:9]
.LBB4_4:                                ;   in Loop: Header=BB4_5 Depth=1
	s_or_b64 exec, exec, s[4:5]
	v_lshlrev_b16_e32 v22, 8, v20
	v_bitop3_b16 v22, v18, v22, s13 bitop3:0xec
	v_perm_b32 v17, v17, v19, s12
	v_lshlrev_b32_e32 v23, 16, v22
	v_or_b32_e32 v17, v17, v23
	v_lshrrev_b32_e32 v17, 8, v17
	v_perm_b32 v19, v19, v18, s12
	v_lshlrev_b16_e32 v18, 8, v18
	v_lshrrev_b32_e32 v23, 24, v23
	v_lshlrev_b16_e32 v24, 10, v17
	v_and_b32_e32 v18, 0x300, v18
	v_perm_b32 v25, v9, v21, s15
	v_bitop3_b16 v18, v24, v18, s14 bitop3:0xec
	v_lshlrev_b16_e32 v24, 6, v23
	v_pk_lshlrev_b16 v25, s16, v25
	v_max_i16_sdwa v22, sext(v22), v7 dst_sel:DWORD dst_unused:UNUSED_PAD src0_sel:BYTE_0 src1_sel:DWORD
	v_and_b32_e32 v24, 0xc0, v24
	v_max_i16_sdwa v23, sext(v23), v7 dst_sel:DWORD dst_unused:UNUSED_PAD src0_sel:BYTE_0 src1_sel:DWORD
	v_and_b32_e32 v25, 0xc0030, v25
	v_perm_b32 v20, v20, v21, s12
	v_max_i16_sdwa v17, sext(v17), v7 dst_sel:DWORD dst_unused:UNUSED_PAD src0_sel:BYTE_0 src1_sel:DWORD
	v_max_i16_sdwa v21, sext(v21), v7 dst_sel:DWORD dst_unused:UNUSED_PAD src0_sel:BYTE_0 src1_sel:DWORD
	v_bitop3_b16 v18, v18, v25, v24 bitop3:0xfe
	v_lshrrev_b32_e32 v24, 16, v25
	v_max_i16_sdwa v25, sext(v9), v7 dst_sel:DWORD dst_unused:UNUSED_PAD src0_sel:BYTE_0 src1_sel:DWORD
	v_and_b32_e32 v26, 3, v16
	v_add_u16_e32 v22, v22, v23
	v_bitop3_b16 v18, v18, v26, v24 bitop3:0xfe
	v_max_i16_sdwa v24, sext(v16), v7 dst_sel:DWORD dst_unused:UNUSED_PAD src0_sel:BYTE_0 src1_sel:DWORD
	v_add_u32_e32 v17, v17, v22
	v_add_u16_e32 v21, v21, v25
	v_add3_u32 v17, v17, v21, s17
	v_sub_u32_e32 v21, 0, v24
	v_cmp_eq_u32_e32 vcc, v17, v21
	v_lshrrev_b32_sdwa v21, v14, v19 dst_sel:BYTE_1 dst_unused:UNUSED_PAD src0_sel:DWORD src1_sel:DWORD
	v_add_u32_e32 v8, 1, v8
	v_cndmask_b32_e32 v17, -1, v18, vcc
	v_lshrrev_b32_sdwa v18, v14, v20 dst_sel:BYTE_1 dst_unused:UNUSED_PAD src0_sel:DWORD src1_sel:DWORD
	global_store_short v[12:13], v17, off
	v_bitop3_b16 v18, v20, v18, s13 bitop3:0xec
	v_addc_co_u32_e32 v6, vcc, 0, v6, vcc
	v_bitop3_b16 v17, v19, v21, s13 bitop3:0xec
	v_lshlrev_b32_e32 v19, 16, v18
	v_lshrrev_b32_e32 v20, 24, v19
	v_or_b32_e32 v19, v21, v19
	v_cmp_ge_i32_e32 vcc, v8, v15
	v_lshrrev_b32_e32 v19, 8, v19
	v_lshl_add_u64 v[10:11], v[10:11], 0, 1
	v_lshl_add_u64 v[12:13], v[12:13], 0, 2
	s_or_b64 s[6:7], vcc, s[6:7]
	v_mov_b32_e32 v21, v9
	s_andn2_b64 exec, exec, s[6:7]
	s_cbranch_execz .LBB4_18
.LBB4_5:                                ; =>This Inner Loop Header: Depth=1
	v_mov_b32_e32 v9, v16
	global_load_ubyte v16, v[10:11], off
	s_waitcnt vmcnt(0)
	v_cmp_lt_i16_e32 vcc, 1, v16
	s_and_saveexec_b64 s[4:5], vcc
	s_xor_b64 s[4:5], exec, s[4:5]
	s_cbranch_execz .LBB4_13
; %bb.6:                                ;   in Loop: Header=BB4_5 Depth=1
	v_cmp_lt_i16_e32 vcc, 2, v16
	s_and_saveexec_b64 s[8:9], vcc
	s_xor_b64 s[8:9], exec, s[8:9]
	s_cbranch_execz .LBB4_10
; %bb.7:                                ;   in Loop: Header=BB4_5 Depth=1
	v_cmp_eq_u16_e32 vcc, 3, v16
	s_and_saveexec_b64 s[10:11], vcc
; %bb.8:                                ;   in Loop: Header=BB4_5 Depth=1
	v_add_u32_e32 v3, 1, v3
; %bb.9:                                ;   in Loop: Header=BB4_5 Depth=1
	s_or_b64 exec, exec, s[10:11]
.LBB4_10:                               ;   in Loop: Header=BB4_5 Depth=1
	s_andn2_saveexec_b64 s[8:9], s[8:9]
; %bb.11:                               ;   in Loop: Header=BB4_5 Depth=1
	v_add_u32_e32 v2, 1, v2
; %bb.12:                               ;   in Loop: Header=BB4_5 Depth=1
	s_or_b64 exec, exec, s[8:9]
.LBB4_13:                               ;   in Loop: Header=BB4_5 Depth=1
	s_andn2_saveexec_b64 s[4:5], s[4:5]
	s_cbranch_execz .LBB4_4
; %bb.14:                               ;   in Loop: Header=BB4_5 Depth=1
	v_cmp_lt_i16_e32 vcc, 0, v16
	s_and_saveexec_b64 s[8:9], vcc
	s_xor_b64 s[8:9], exec, s[8:9]
; %bb.15:                               ;   in Loop: Header=BB4_5 Depth=1
	v_add_u32_e32 v1, 1, v1
; %bb.16:                               ;   in Loop: Header=BB4_5 Depth=1
	s_andn2_saveexec_b64 s[8:9], s[8:9]
	s_cbranch_execz .LBB4_3
; %bb.17:                               ;   in Loop: Header=BB4_5 Depth=1
	v_add_u32_e32 v0, 1, v0
	s_branch .LBB4_3
.LBB4_18:
	s_or_b64 exec, exec, s[6:7]
	v_mov_b32_e32 v7, 0
.LBB4_19:
	s_or_b64 exec, exec, s[2:3]
	s_load_dwordx4 s[4:7], s[0:1], 0x28
	v_lshlrev_b32_e32 v8, 2, v4
	v_ashrrev_i32_e32 v9, 31, v8
	s_waitcnt lgkmcnt(0)
	v_mov_b32_e32 v10, s4
	v_mov_b32_e32 v11, s5
	;; [unrolled: 1-line block ×4, first 2 shown]
	v_lshl_add_u64 v[4:5], v[4:5], 3, v[10:11]
	global_store_dwordx2 v[4:5], v[6:7], off
	v_lshl_add_u64 v[4:5], v[8:9], 2, v[12:13]
	global_store_dwordx4 v[4:5], v[0:3], off
.LBB4_20:
	s_endpgm
	.section	.rodata,"a",@progbits
	.p2align	6, 0x0
	.amdhsa_kernel _Z19kernel_createIndex6PKcPKiPKlPtS5_PlPii
		.amdhsa_group_segment_fixed_size 0
		.amdhsa_private_segment_fixed_size 0
		.amdhsa_kernarg_size 320
		.amdhsa_user_sgpr_count 2
		.amdhsa_user_sgpr_dispatch_ptr 0
		.amdhsa_user_sgpr_queue_ptr 0
		.amdhsa_user_sgpr_kernarg_segment_ptr 1
		.amdhsa_user_sgpr_dispatch_id 0
		.amdhsa_user_sgpr_kernarg_preload_length 0
		.amdhsa_user_sgpr_kernarg_preload_offset 0
		.amdhsa_user_sgpr_private_segment_size 0
		.amdhsa_uses_dynamic_stack 0
		.amdhsa_enable_private_segment 0
		.amdhsa_system_sgpr_workgroup_id_x 1
		.amdhsa_system_sgpr_workgroup_id_y 0
		.amdhsa_system_sgpr_workgroup_id_z 0
		.amdhsa_system_sgpr_workgroup_info 0
		.amdhsa_system_vgpr_workitem_id 0
		.amdhsa_next_free_vgpr 27
		.amdhsa_next_free_sgpr 18
		.amdhsa_accum_offset 28
		.amdhsa_reserve_vcc 1
		.amdhsa_float_round_mode_32 0
		.amdhsa_float_round_mode_16_64 0
		.amdhsa_float_denorm_mode_32 3
		.amdhsa_float_denorm_mode_16_64 3
		.amdhsa_dx10_clamp 1
		.amdhsa_ieee_mode 1
		.amdhsa_fp16_overflow 0
		.amdhsa_tg_split 0
		.amdhsa_exception_fp_ieee_invalid_op 0
		.amdhsa_exception_fp_denorm_src 0
		.amdhsa_exception_fp_ieee_div_zero 0
		.amdhsa_exception_fp_ieee_overflow 0
		.amdhsa_exception_fp_ieee_underflow 0
		.amdhsa_exception_fp_ieee_inexact 0
		.amdhsa_exception_int_div_zero 0
	.end_amdhsa_kernel
	.text
.Lfunc_end4:
	.size	_Z19kernel_createIndex6PKcPKiPKlPtS5_PlPii, .Lfunc_end4-_Z19kernel_createIndex6PKcPKiPKlPtS5_PlPii
                                        ; -- End function
	.set _Z19kernel_createIndex6PKcPKiPKlPtS5_PlPii.num_vgpr, 27
	.set _Z19kernel_createIndex6PKcPKiPKlPtS5_PlPii.num_agpr, 0
	.set _Z19kernel_createIndex6PKcPKiPKlPtS5_PlPii.numbered_sgpr, 18
	.set _Z19kernel_createIndex6PKcPKiPKlPtS5_PlPii.num_named_barrier, 0
	.set _Z19kernel_createIndex6PKcPKiPKlPtS5_PlPii.private_seg_size, 0
	.set _Z19kernel_createIndex6PKcPKiPKlPtS5_PlPii.uses_vcc, 1
	.set _Z19kernel_createIndex6PKcPKiPKlPtS5_PlPii.uses_flat_scratch, 0
	.set _Z19kernel_createIndex6PKcPKiPKlPtS5_PlPii.has_dyn_sized_stack, 0
	.set _Z19kernel_createIndex6PKcPKiPKlPtS5_PlPii.has_recursion, 0
	.set _Z19kernel_createIndex6PKcPKiPKlPtS5_PlPii.has_indirect_call, 0
	.section	.AMDGPU.csdata,"",@progbits
; Kernel info:
; codeLenInByte = 804
; TotalNumSgprs: 24
; NumVgprs: 27
; NumAgprs: 0
; TotalNumVgprs: 27
; ScratchSize: 0
; MemoryBound: 0
; FloatMode: 240
; IeeeMode: 1
; LDSByteSize: 0 bytes/workgroup (compile time only)
; SGPRBlocks: 2
; VGPRBlocks: 3
; NumSGPRsForWavesPerEU: 24
; NumVGPRsForWavesPerEU: 27
; AccumOffset: 28
; Occupancy: 8
; WaveLimiterHint : 0
; COMPUTE_PGM_RSRC2:SCRATCH_EN: 0
; COMPUTE_PGM_RSRC2:USER_SGPR: 2
; COMPUTE_PGM_RSRC2:TRAP_HANDLER: 0
; COMPUTE_PGM_RSRC2:TGID_X_EN: 1
; COMPUTE_PGM_RSRC2:TGID_Y_EN: 0
; COMPUTE_PGM_RSRC2:TGID_Z_EN: 0
; COMPUTE_PGM_RSRC2:TIDIG_COMP_CNT: 0
; COMPUTE_PGM_RSRC3_GFX90A:ACCUM_OFFSET: 6
; COMPUTE_PGM_RSRC3_GFX90A:TG_SPLIT: 0
	.text
	.protected	_Z19kernel_createIndex7PKcPKiPKlPtS5_PlPii ; -- Begin function _Z19kernel_createIndex7PKcPKiPKlPtS5_PlPii
	.globl	_Z19kernel_createIndex7PKcPKiPKlPtS5_PlPii
	.p2align	8
	.type	_Z19kernel_createIndex7PKcPKiPKlPtS5_PlPii,@function
_Z19kernel_createIndex7PKcPKiPKlPtS5_PlPii: ; @_Z19kernel_createIndex7PKcPKiPKlPtS5_PlPii
; %bb.0:
	s_load_dword s3, s[0:1], 0x4c
	s_load_dword s4, s[0:1], 0x38
	s_waitcnt lgkmcnt(0)
	s_and_b32 s3, s3, 0xffff
	s_mul_i32 s2, s2, s3
	v_add_u32_e32 v4, s2, v0
	v_cmp_gt_i32_e32 vcc, s4, v4
	s_and_saveexec_b64 s[2:3], vcc
	s_cbranch_execz .LBB5_20
; %bb.1:
	s_load_dwordx8 s[4:11], s[0:1], 0x0
	v_ashrrev_i32_e32 v5, 31, v4
	v_mov_b32_e32 v3, 0
	v_mov_b64_e32 v[6:7], 0
	v_mov_b32_e32 v2, 0
	s_waitcnt lgkmcnt(0)
	v_mov_b32_e32 v0, s6
	v_mov_b32_e32 v1, s7
	v_lshl_add_u64 v[0:1], v[4:5], 2, v[0:1]
	global_load_dword v10, v[0:1], off
	v_mov_b32_e32 v1, 0
	v_mov_b32_e32 v0, 0
	s_waitcnt vmcnt(0)
	v_cmp_lt_i32_e32 vcc, 0, v10
	s_and_saveexec_b64 s[2:3], vcc
	s_cbranch_execz .LBB5_19
; %bb.2:
	v_mov_b32_e32 v0, s8
	v_mov_b32_e32 v1, s9
	v_lshl_add_u64 v[0:1], v[4:5], 3, v[0:1]
	global_load_dword v8, v[0:1], off
	v_mov_b32_e32 v12, s10
	v_mov_b32_e32 v13, s11
	;; [unrolled: 1-line block ×4, first 2 shown]
	s_mov_b64 s[6:7], 0
	s_mov_b32 s12, 0xc0c0004
	s_movk_i32 s13, 0xff
	s_mov_b32 s14, 0x5040100
	s_mov_b32 s15, 0x40006
	s_movk_i32 s16, 0xffeb
	v_mov_b32_e32 v7, 3
	v_mov_b32_e32 v14, 8
	;; [unrolled: 1-line block ×12, first 2 shown]
	s_waitcnt vmcnt(0)
	v_ashrrev_i32_e32 v9, 31, v8
	v_add_u32_e32 v16, v10, v8
	v_lshl_add_u64 v[10:11], s[4:5], 0, v[8:9]
	v_lshl_add_u64 v[12:13], v[8:9], 1, v[12:13]
	s_branch .LBB5_5
.LBB5_3:                                ;   in Loop: Header=BB5_5 Depth=1
	s_or_b64 exec, exec, s[8:9]
.LBB5_4:                                ;   in Loop: Header=BB5_5 Depth=1
	s_or_b64 exec, exec, s[4:5]
	v_lshlrev_b16_e32 v23, 8, v21
	v_bitop3_b16 v23, v19, v23, s13 bitop3:0xec
	v_perm_b32 v18, v18, v20, s12
	v_lshlrev_b32_e32 v24, 16, v23
	v_or_b32_e32 v18, v18, v24
	v_lshrrev_b32_e32 v18, 8, v18
	v_lshrrev_b32_e32 v24, 24, v24
	v_perm_b32 v20, v20, v19, s12
	v_lshlrev_b16_e32 v25, 12, v18
	v_lshlrev_b16_e32 v19, 10, v19
	;; [unrolled: 1-line block ×3, first 2 shown]
	v_and_b32_e32 v25, 0x3000, v25
	v_and_b32_e32 v19, 0xc00, v19
	;; [unrolled: 1-line block ×3, first 2 shown]
	v_bitop3_b16 v19, v25, v26, v19 bitop3:0xfe
	v_perm_b32 v25, v15, v22, s14
	v_pk_lshlrev_b16 v25, s15, v25
	v_perm_b32 v21, v21, v22, s12
	v_and_b32_e32 v25, 0x3000c0, v25
	v_lshrrev_b32_e32 v26, 16, v25
	v_max_i16_sdwa v23, sext(v23), v7 dst_sel:DWORD dst_unused:UNUSED_PAD src0_sel:BYTE_0 src1_sel:DWORD
	v_max_i16_sdwa v24, sext(v24), v7 dst_sel:DWORD dst_unused:UNUSED_PAD src0_sel:BYTE_0 src1_sel:DWORD
	;; [unrolled: 1-line block ×3, first 2 shown]
	v_bitop3_b16 v19, v19, v26, v25 bitop3:0xfe
	v_max_i16_sdwa v25, sext(v15), v7 dst_sel:DWORD dst_unused:UNUSED_PAD src0_sel:BYTE_0 src1_sel:DWORD
	v_lshlrev_b16_e32 v26, 2, v9
	v_max_i16_sdwa v18, sext(v18), v7 dst_sel:DWORD dst_unused:UNUSED_PAD src0_sel:BYTE_0 src1_sel:DWORD
	v_and_b32_e32 v26, 12, v26
	v_max_i16_sdwa v27, sext(v9), v7 dst_sel:DWORD dst_unused:UNUSED_PAD src0_sel:BYTE_0 src1_sel:DWORD
	v_and_b32_e32 v28, 3, v17
	v_add_u16_e32 v23, v23, v24
	v_add_u16_e32 v22, v22, v25
	v_bitop3_b16 v19, v19, v28, v26 bitop3:0xfe
	v_max_i16_sdwa v26, sext(v17), v7 dst_sel:DWORD dst_unused:UNUSED_PAD src0_sel:BYTE_0 src1_sel:DWORD
	v_add_u32_e32 v18, v18, v23
	v_add_u32_e32 v22, v22, v27
	v_add3_u32 v18, v18, v22, s16
	v_sub_u32_e32 v22, 0, v26
	v_cmp_eq_u32_e32 vcc, v18, v22
	v_lshrrev_b32_sdwa v22, v14, v20 dst_sel:BYTE_1 dst_unused:UNUSED_PAD src0_sel:DWORD src1_sel:DWORD
	v_add_u32_e32 v8, 1, v8
	v_cndmask_b32_e32 v18, -1, v19, vcc
	v_lshrrev_b32_sdwa v19, v14, v21 dst_sel:BYTE_1 dst_unused:UNUSED_PAD src0_sel:DWORD src1_sel:DWORD
	global_store_short v[12:13], v18, off
	v_bitop3_b16 v19, v21, v19, s13 bitop3:0xec
	v_addc_co_u32_e32 v6, vcc, 0, v6, vcc
	v_bitop3_b16 v18, v20, v22, s13 bitop3:0xec
	v_lshlrev_b32_e32 v20, 16, v19
	v_lshrrev_b32_e32 v21, 24, v20
	v_or_b32_e32 v20, v22, v20
	v_cmp_ge_i32_e32 vcc, v8, v16
	v_lshrrev_b32_e32 v20, 8, v20
	v_lshl_add_u64 v[10:11], v[10:11], 0, 1
	v_lshl_add_u64 v[12:13], v[12:13], 0, 2
	s_or_b64 s[6:7], vcc, s[6:7]
	v_mov_b32_e32 v22, v15
	v_mov_b32_e32 v15, v9
	s_andn2_b64 exec, exec, s[6:7]
	s_cbranch_execz .LBB5_18
.LBB5_5:                                ; =>This Inner Loop Header: Depth=1
	v_mov_b32_e32 v9, v17
	global_load_ubyte v17, v[10:11], off
	s_waitcnt vmcnt(0)
	v_cmp_lt_i16_e32 vcc, 1, v17
	s_and_saveexec_b64 s[4:5], vcc
	s_xor_b64 s[4:5], exec, s[4:5]
	s_cbranch_execz .LBB5_13
; %bb.6:                                ;   in Loop: Header=BB5_5 Depth=1
	v_cmp_lt_i16_e32 vcc, 2, v17
	s_and_saveexec_b64 s[8:9], vcc
	s_xor_b64 s[8:9], exec, s[8:9]
	s_cbranch_execz .LBB5_10
; %bb.7:                                ;   in Loop: Header=BB5_5 Depth=1
	v_cmp_eq_u16_e32 vcc, 3, v17
	s_and_saveexec_b64 s[10:11], vcc
; %bb.8:                                ;   in Loop: Header=BB5_5 Depth=1
	v_add_u32_e32 v3, 1, v3
; %bb.9:                                ;   in Loop: Header=BB5_5 Depth=1
	s_or_b64 exec, exec, s[10:11]
.LBB5_10:                               ;   in Loop: Header=BB5_5 Depth=1
	s_andn2_saveexec_b64 s[8:9], s[8:9]
; %bb.11:                               ;   in Loop: Header=BB5_5 Depth=1
	v_add_u32_e32 v2, 1, v2
; %bb.12:                               ;   in Loop: Header=BB5_5 Depth=1
	s_or_b64 exec, exec, s[8:9]
.LBB5_13:                               ;   in Loop: Header=BB5_5 Depth=1
	s_andn2_saveexec_b64 s[4:5], s[4:5]
	s_cbranch_execz .LBB5_4
; %bb.14:                               ;   in Loop: Header=BB5_5 Depth=1
	v_cmp_lt_i16_e32 vcc, 0, v17
	s_and_saveexec_b64 s[8:9], vcc
	s_xor_b64 s[8:9], exec, s[8:9]
; %bb.15:                               ;   in Loop: Header=BB5_5 Depth=1
	v_add_u32_e32 v1, 1, v1
; %bb.16:                               ;   in Loop: Header=BB5_5 Depth=1
	s_andn2_saveexec_b64 s[8:9], s[8:9]
	s_cbranch_execz .LBB5_3
; %bb.17:                               ;   in Loop: Header=BB5_5 Depth=1
	v_add_u32_e32 v0, 1, v0
	s_branch .LBB5_3
.LBB5_18:
	s_or_b64 exec, exec, s[6:7]
	v_mov_b32_e32 v7, 0
.LBB5_19:
	s_or_b64 exec, exec, s[2:3]
	s_load_dwordx4 s[4:7], s[0:1], 0x28
	v_lshlrev_b32_e32 v8, 2, v4
	v_ashrrev_i32_e32 v9, 31, v8
	s_waitcnt lgkmcnt(0)
	v_mov_b32_e32 v10, s4
	v_mov_b32_e32 v11, s5
	;; [unrolled: 1-line block ×4, first 2 shown]
	v_lshl_add_u64 v[4:5], v[4:5], 3, v[10:11]
	global_store_dwordx2 v[4:5], v[6:7], off
	v_lshl_add_u64 v[4:5], v[8:9], 2, v[12:13]
	global_store_dwordx4 v[4:5], v[0:3], off
.LBB5_20:
	s_endpgm
	.section	.rodata,"a",@progbits
	.p2align	6, 0x0
	.amdhsa_kernel _Z19kernel_createIndex7PKcPKiPKlPtS5_PlPii
		.amdhsa_group_segment_fixed_size 0
		.amdhsa_private_segment_fixed_size 0
		.amdhsa_kernarg_size 320
		.amdhsa_user_sgpr_count 2
		.amdhsa_user_sgpr_dispatch_ptr 0
		.amdhsa_user_sgpr_queue_ptr 0
		.amdhsa_user_sgpr_kernarg_segment_ptr 1
		.amdhsa_user_sgpr_dispatch_id 0
		.amdhsa_user_sgpr_kernarg_preload_length 0
		.amdhsa_user_sgpr_kernarg_preload_offset 0
		.amdhsa_user_sgpr_private_segment_size 0
		.amdhsa_uses_dynamic_stack 0
		.amdhsa_enable_private_segment 0
		.amdhsa_system_sgpr_workgroup_id_x 1
		.amdhsa_system_sgpr_workgroup_id_y 0
		.amdhsa_system_sgpr_workgroup_id_z 0
		.amdhsa_system_sgpr_workgroup_info 0
		.amdhsa_system_vgpr_workitem_id 0
		.amdhsa_next_free_vgpr 29
		.amdhsa_next_free_sgpr 17
		.amdhsa_accum_offset 32
		.amdhsa_reserve_vcc 1
		.amdhsa_float_round_mode_32 0
		.amdhsa_float_round_mode_16_64 0
		.amdhsa_float_denorm_mode_32 3
		.amdhsa_float_denorm_mode_16_64 3
		.amdhsa_dx10_clamp 1
		.amdhsa_ieee_mode 1
		.amdhsa_fp16_overflow 0
		.amdhsa_tg_split 0
		.amdhsa_exception_fp_ieee_invalid_op 0
		.amdhsa_exception_fp_denorm_src 0
		.amdhsa_exception_fp_ieee_div_zero 0
		.amdhsa_exception_fp_ieee_overflow 0
		.amdhsa_exception_fp_ieee_underflow 0
		.amdhsa_exception_fp_ieee_inexact 0
		.amdhsa_exception_int_div_zero 0
	.end_amdhsa_kernel
	.text
.Lfunc_end5:
	.size	_Z19kernel_createIndex7PKcPKiPKlPtS5_PlPii, .Lfunc_end5-_Z19kernel_createIndex7PKcPKiPKlPtS5_PlPii
                                        ; -- End function
	.set _Z19kernel_createIndex7PKcPKiPKlPtS5_PlPii.num_vgpr, 29
	.set _Z19kernel_createIndex7PKcPKiPKlPtS5_PlPii.num_agpr, 0
	.set _Z19kernel_createIndex7PKcPKiPKlPtS5_PlPii.numbered_sgpr, 17
	.set _Z19kernel_createIndex7PKcPKiPKlPtS5_PlPii.num_named_barrier, 0
	.set _Z19kernel_createIndex7PKcPKiPKlPtS5_PlPii.private_seg_size, 0
	.set _Z19kernel_createIndex7PKcPKiPKlPtS5_PlPii.uses_vcc, 1
	.set _Z19kernel_createIndex7PKcPKiPKlPtS5_PlPii.uses_flat_scratch, 0
	.set _Z19kernel_createIndex7PKcPKiPKlPtS5_PlPii.has_dyn_sized_stack, 0
	.set _Z19kernel_createIndex7PKcPKiPKlPtS5_PlPii.has_recursion, 0
	.set _Z19kernel_createIndex7PKcPKiPKlPtS5_PlPii.has_indirect_call, 0
	.section	.AMDGPU.csdata,"",@progbits
; Kernel info:
; codeLenInByte = 836
; TotalNumSgprs: 23
; NumVgprs: 29
; NumAgprs: 0
; TotalNumVgprs: 29
; ScratchSize: 0
; MemoryBound: 0
; FloatMode: 240
; IeeeMode: 1
; LDSByteSize: 0 bytes/workgroup (compile time only)
; SGPRBlocks: 2
; VGPRBlocks: 3
; NumSGPRsForWavesPerEU: 23
; NumVGPRsForWavesPerEU: 29
; AccumOffset: 32
; Occupancy: 8
; WaveLimiterHint : 0
; COMPUTE_PGM_RSRC2:SCRATCH_EN: 0
; COMPUTE_PGM_RSRC2:USER_SGPR: 2
; COMPUTE_PGM_RSRC2:TRAP_HANDLER: 0
; COMPUTE_PGM_RSRC2:TGID_X_EN: 1
; COMPUTE_PGM_RSRC2:TGID_Y_EN: 0
; COMPUTE_PGM_RSRC2:TGID_Z_EN: 0
; COMPUTE_PGM_RSRC2:TIDIG_COMP_CNT: 0
; COMPUTE_PGM_RSRC3_GFX90A:ACCUM_OFFSET: 7
; COMPUTE_PGM_RSRC3_GFX90A:TG_SPLIT: 0
	.text
	.protected	_Z19kernel_createCutofffiPKiPlPii ; -- Begin function _Z19kernel_createCutofffiPKiPlPii
	.globl	_Z19kernel_createCutofffiPKiPlPii
	.p2align	8
	.type	_Z19kernel_createCutofffiPKiPlPii,@function
_Z19kernel_createCutofffiPKiPlPii:      ; @_Z19kernel_createCutofffiPKiPlPii
; %bb.0:
	s_load_dword s3, s[0:1], 0x34
	s_load_dword s4, s[0:1], 0x20
	s_waitcnt lgkmcnt(0)
	s_and_b32 s3, s3, 0xffff
	s_mul_i32 s2, s2, s3
	v_add_u32_e32 v0, s2, v0
	v_cmp_gt_i32_e32 vcc, s4, v0
	s_and_saveexec_b64 s[2:3], vcc
	s_cbranch_execz .LBB6_2
; %bb.1:
	s_load_dwordx4 s[4:7], s[0:1], 0x0
	s_load_dwordx2 s[2:3], s[0:1], 0x18
	v_ashrrev_i32_e32 v1, 31, v0
	v_lshlrev_b64 v[0:1], 2, v[0:1]
	s_waitcnt lgkmcnt(0)
	v_lshl_add_u64 v[2:3], s[6:7], 0, v[0:1]
	global_load_dword v2, v[2:3], off
	v_cvt_f32_i32_e32 v4, s5
	v_sub_f32_e64 v5, 1.0, s4
	v_lshl_add_u64 v[0:1], s[2:3], 0, v[0:1]
	s_waitcnt vmcnt(0)
	v_cvt_f32_i32_e32 v3, v2
	v_mul_f32_e32 v3, v5, v3
	v_mul_f32_e32 v3, v3, v4
	v_ceil_f32_e32 v3, v3
	v_cvt_i32_f32_e32 v3, v3
	v_add_u32_e32 v3, s5, v3
	v_sub_u32_e32 v2, v2, v3
	v_add_u32_e32 v2, 1, v2
	global_store_dword v[0:1], v2, off
.LBB6_2:
	s_endpgm
	.section	.rodata,"a",@progbits
	.p2align	6, 0x0
	.amdhsa_kernel _Z19kernel_createCutofffiPKiPlPii
		.amdhsa_group_segment_fixed_size 0
		.amdhsa_private_segment_fixed_size 0
		.amdhsa_kernarg_size 296
		.amdhsa_user_sgpr_count 2
		.amdhsa_user_sgpr_dispatch_ptr 0
		.amdhsa_user_sgpr_queue_ptr 0
		.amdhsa_user_sgpr_kernarg_segment_ptr 1
		.amdhsa_user_sgpr_dispatch_id 0
		.amdhsa_user_sgpr_kernarg_preload_length 0
		.amdhsa_user_sgpr_kernarg_preload_offset 0
		.amdhsa_user_sgpr_private_segment_size 0
		.amdhsa_uses_dynamic_stack 0
		.amdhsa_enable_private_segment 0
		.amdhsa_system_sgpr_workgroup_id_x 1
		.amdhsa_system_sgpr_workgroup_id_y 0
		.amdhsa_system_sgpr_workgroup_id_z 0
		.amdhsa_system_sgpr_workgroup_info 0
		.amdhsa_system_vgpr_workitem_id 0
		.amdhsa_next_free_vgpr 6
		.amdhsa_next_free_sgpr 8
		.amdhsa_accum_offset 8
		.amdhsa_reserve_vcc 1
		.amdhsa_float_round_mode_32 0
		.amdhsa_float_round_mode_16_64 0
		.amdhsa_float_denorm_mode_32 3
		.amdhsa_float_denorm_mode_16_64 3
		.amdhsa_dx10_clamp 1
		.amdhsa_ieee_mode 1
		.amdhsa_fp16_overflow 0
		.amdhsa_tg_split 0
		.amdhsa_exception_fp_ieee_invalid_op 0
		.amdhsa_exception_fp_denorm_src 0
		.amdhsa_exception_fp_ieee_div_zero 0
		.amdhsa_exception_fp_ieee_overflow 0
		.amdhsa_exception_fp_ieee_underflow 0
		.amdhsa_exception_fp_ieee_inexact 0
		.amdhsa_exception_int_div_zero 0
	.end_amdhsa_kernel
	.text
.Lfunc_end6:
	.size	_Z19kernel_createCutofffiPKiPlPii, .Lfunc_end6-_Z19kernel_createCutofffiPKiPlPii
                                        ; -- End function
	.set _Z19kernel_createCutofffiPKiPlPii.num_vgpr, 6
	.set _Z19kernel_createCutofffiPKiPlPii.num_agpr, 0
	.set _Z19kernel_createCutofffiPKiPlPii.numbered_sgpr, 8
	.set _Z19kernel_createCutofffiPKiPlPii.num_named_barrier, 0
	.set _Z19kernel_createCutofffiPKiPlPii.private_seg_size, 0
	.set _Z19kernel_createCutofffiPKiPlPii.uses_vcc, 1
	.set _Z19kernel_createCutofffiPKiPlPii.uses_flat_scratch, 0
	.set _Z19kernel_createCutofffiPKiPlPii.has_dyn_sized_stack, 0
	.set _Z19kernel_createCutofffiPKiPlPii.has_recursion, 0
	.set _Z19kernel_createCutofffiPKiPlPii.has_indirect_call, 0
	.section	.AMDGPU.csdata,"",@progbits
; Kernel info:
; codeLenInByte = 164
; TotalNumSgprs: 14
; NumVgprs: 6
; NumAgprs: 0
; TotalNumVgprs: 6
; ScratchSize: 0
; MemoryBound: 0
; FloatMode: 240
; IeeeMode: 1
; LDSByteSize: 0 bytes/workgroup (compile time only)
; SGPRBlocks: 1
; VGPRBlocks: 0
; NumSGPRsForWavesPerEU: 14
; NumVGPRsForWavesPerEU: 6
; AccumOffset: 8
; Occupancy: 8
; WaveLimiterHint : 0
; COMPUTE_PGM_RSRC2:SCRATCH_EN: 0
; COMPUTE_PGM_RSRC2:USER_SGPR: 2
; COMPUTE_PGM_RSRC2:TRAP_HANDLER: 0
; COMPUTE_PGM_RSRC2:TGID_X_EN: 1
; COMPUTE_PGM_RSRC2:TGID_Y_EN: 0
; COMPUTE_PGM_RSRC2:TGID_Z_EN: 0
; COMPUTE_PGM_RSRC2:TIDIG_COMP_CNT: 0
; COMPUTE_PGM_RSRC3_GFX90A:ACCUM_OFFSET: 1
; COMPUTE_PGM_RSRC3_GFX90A:TG_SPLIT: 0
	.text
	.protected	_Z17kernel_mergeIndexPKlPKtPtS0_i ; -- Begin function _Z17kernel_mergeIndexPKlPKtPtS0_i
	.globl	_Z17kernel_mergeIndexPKlPKtPtS0_i
	.p2align	8
	.type	_Z17kernel_mergeIndexPKlPKtPtS0_i,@function
_Z17kernel_mergeIndexPKlPKtPtS0_i:      ; @_Z17kernel_mergeIndexPKlPKtPtS0_i
; %bb.0:
	s_load_dword s3, s[0:1], 0x34
	s_load_dword s4, s[0:1], 0x20
	s_waitcnt lgkmcnt(0)
	s_and_b32 s3, s3, 0xffff
	s_mul_i32 s2, s2, s3
	v_add_u32_e32 v0, s2, v0
	v_cmp_gt_i32_e32 vcc, s4, v0
	s_and_saveexec_b64 s[2:3], vcc
	s_cbranch_execz .LBB7_6
; %bb.1:
	s_load_dwordx8 s[4:11], s[0:1], 0x0
	v_ashrrev_i32_e32 v1, 31, v0
	v_lshlrev_b64 v[0:1], 3, v[0:1]
	s_waitcnt lgkmcnt(0)
	v_lshl_add_u64 v[4:5], s[4:5], 0, v[0:1]
	v_lshl_add_u64 v[0:1], s[10:11], 0, v[0:1]
	global_load_dwordx2 v[2:3], v[4:5], off
	global_load_dwordx2 v[6:7], v[0:1], off
	s_waitcnt vmcnt(0)
	v_lshl_add_u64 v[0:1], v[6:7], 0, v[2:3]
	v_add_u32_e32 v1, 1, v2
	v_cmp_lt_i32_e32 vcc, v1, v0
	v_mov_b32_e32 v6, 1
	s_and_saveexec_b64 s[0:1], vcc
	s_cbranch_execz .LBB7_5
; %bb.2:
	v_mov_b32_e32 v4, 0
	v_mov_b32_e32 v5, v2
	v_ashrrev_i64 v[4:5], 31, v[4:5]
	v_lshl_add_u64 v[4:5], s[6:7], 0, v[4:5]
	global_load_ushort v7, v[4:5], off
	v_ashrrev_i32_e32 v3, 31, v2
	v_lshlrev_b64 v[4:5], 1, v[2:3]
	v_lshl_add_u64 v[2:3], s[8:9], 0, v[4:5]
	v_lshl_add_u64 v[4:5], s[6:7], 0, v[4:5]
	v_mov_b32_e32 v6, 1
	v_lshl_add_u64 v[4:5], v[4:5], 0, 2
	s_mov_b64 s[2:3], 0
.LBB7_3:                                ; =>This Inner Loop Header: Depth=1
	global_load_ushort v8, v[4:5], off
	v_add_u32_e32 v1, 1, v1
	v_cmp_ge_i32_e32 vcc, v1, v0
	s_or_b64 s[2:3], vcc, s[2:3]
	v_add_u32_e32 v9, 1, v6
	v_lshl_add_u64 v[4:5], v[4:5], 0, 2
	s_waitcnt vmcnt(0)
	v_cmp_eq_u16_e32 vcc, v8, v7
	s_nop 1
	v_cndmask_b32_e64 v10, v6, 0, vcc
	v_mov_b32_e32 v7, v8
	v_cndmask_b32_e32 v6, 1, v9, vcc
	global_store_short v[2:3], v10, off
	v_lshl_add_u64 v[2:3], v[2:3], 0, 2
	s_andn2_b64 exec, exec, s[2:3]
	s_cbranch_execnz .LBB7_3
; %bb.4:
	s_or_b64 exec, exec, s[2:3]
.LBB7_5:
	s_or_b64 exec, exec, s[0:1]
	v_add_u32_e32 v1, -1, v0
	v_mov_b32_e32 v0, 0
	v_ashrrev_i64 v[0:1], 31, v[0:1]
	v_lshl_add_u64 v[0:1], s[8:9], 0, v[0:1]
	global_store_short v[0:1], v6, off
.LBB7_6:
	s_endpgm
	.section	.rodata,"a",@progbits
	.p2align	6, 0x0
	.amdhsa_kernel _Z17kernel_mergeIndexPKlPKtPtS0_i
		.amdhsa_group_segment_fixed_size 0
		.amdhsa_private_segment_fixed_size 0
		.amdhsa_kernarg_size 296
		.amdhsa_user_sgpr_count 2
		.amdhsa_user_sgpr_dispatch_ptr 0
		.amdhsa_user_sgpr_queue_ptr 0
		.amdhsa_user_sgpr_kernarg_segment_ptr 1
		.amdhsa_user_sgpr_dispatch_id 0
		.amdhsa_user_sgpr_kernarg_preload_length 0
		.amdhsa_user_sgpr_kernarg_preload_offset 0
		.amdhsa_user_sgpr_private_segment_size 0
		.amdhsa_uses_dynamic_stack 0
		.amdhsa_enable_private_segment 0
		.amdhsa_system_sgpr_workgroup_id_x 1
		.amdhsa_system_sgpr_workgroup_id_y 0
		.amdhsa_system_sgpr_workgroup_id_z 0
		.amdhsa_system_sgpr_workgroup_info 0
		.amdhsa_system_vgpr_workitem_id 0
		.amdhsa_next_free_vgpr 11
		.amdhsa_next_free_sgpr 12
		.amdhsa_accum_offset 12
		.amdhsa_reserve_vcc 1
		.amdhsa_float_round_mode_32 0
		.amdhsa_float_round_mode_16_64 0
		.amdhsa_float_denorm_mode_32 3
		.amdhsa_float_denorm_mode_16_64 3
		.amdhsa_dx10_clamp 1
		.amdhsa_ieee_mode 1
		.amdhsa_fp16_overflow 0
		.amdhsa_tg_split 0
		.amdhsa_exception_fp_ieee_invalid_op 0
		.amdhsa_exception_fp_denorm_src 0
		.amdhsa_exception_fp_ieee_div_zero 0
		.amdhsa_exception_fp_ieee_overflow 0
		.amdhsa_exception_fp_ieee_underflow 0
		.amdhsa_exception_fp_ieee_inexact 0
		.amdhsa_exception_int_div_zero 0
	.end_amdhsa_kernel
	.text
.Lfunc_end7:
	.size	_Z17kernel_mergeIndexPKlPKtPtS0_i, .Lfunc_end7-_Z17kernel_mergeIndexPKlPKtPtS0_i
                                        ; -- End function
	.set _Z17kernel_mergeIndexPKlPKtPtS0_i.num_vgpr, 11
	.set _Z17kernel_mergeIndexPKlPKtPtS0_i.num_agpr, 0
	.set _Z17kernel_mergeIndexPKlPKtPtS0_i.numbered_sgpr, 12
	.set _Z17kernel_mergeIndexPKlPKtPtS0_i.num_named_barrier, 0
	.set _Z17kernel_mergeIndexPKlPKtPtS0_i.private_seg_size, 0
	.set _Z17kernel_mergeIndexPKlPKtPtS0_i.uses_vcc, 1
	.set _Z17kernel_mergeIndexPKlPKtPtS0_i.uses_flat_scratch, 0
	.set _Z17kernel_mergeIndexPKlPKtPtS0_i.has_dyn_sized_stack, 0
	.set _Z17kernel_mergeIndexPKlPKtPtS0_i.has_recursion, 0
	.set _Z17kernel_mergeIndexPKlPKtPtS0_i.has_indirect_call, 0
	.section	.AMDGPU.csdata,"",@progbits
; Kernel info:
; codeLenInByte = 340
; TotalNumSgprs: 18
; NumVgprs: 11
; NumAgprs: 0
; TotalNumVgprs: 11
; ScratchSize: 0
; MemoryBound: 0
; FloatMode: 240
; IeeeMode: 1
; LDSByteSize: 0 bytes/workgroup (compile time only)
; SGPRBlocks: 2
; VGPRBlocks: 1
; NumSGPRsForWavesPerEU: 18
; NumVGPRsForWavesPerEU: 11
; AccumOffset: 12
; Occupancy: 8
; WaveLimiterHint : 1
; COMPUTE_PGM_RSRC2:SCRATCH_EN: 0
; COMPUTE_PGM_RSRC2:USER_SGPR: 2
; COMPUTE_PGM_RSRC2:TRAP_HANDLER: 0
; COMPUTE_PGM_RSRC2:TGID_X_EN: 1
; COMPUTE_PGM_RSRC2:TGID_Y_EN: 0
; COMPUTE_PGM_RSRC2:TGID_Z_EN: 0
; COMPUTE_PGM_RSRC2:TIDIG_COMP_CNT: 0
; COMPUTE_PGM_RSRC3_GFX90A:ACCUM_OFFSET: 2
; COMPUTE_PGM_RSRC3_GFX90A:TG_SPLIT: 0
	.text
	.protected	_Z27kernel_updateRepresentativePiS_i ; -- Begin function _Z27kernel_updateRepresentativePiS_i
	.globl	_Z27kernel_updateRepresentativePiS_i
	.p2align	8
	.type	_Z27kernel_updateRepresentativePiS_i,@function
_Z27kernel_updateRepresentativePiS_i:   ; @_Z27kernel_updateRepresentativePiS_i
; %bb.0:
	s_load_dwordx4 s[4:7], s[0:1], 0x0
	s_load_dword s11, s[0:1], 0x10
	s_waitcnt lgkmcnt(0)
	s_load_dword s0, s[6:7], 0x0
	s_waitcnt lgkmcnt(0)
	s_ashr_i32 s1, s0, 31
	s_add_i32 s2, s0, 1
	s_max_i32 s10, s11, s2
	s_lshl_b64 s[2:3], s[0:1], 2
	s_add_u32 s1, s4, s2
	s_addc_u32 s3, s5, s3
	s_add_u32 s2, s1, 4
	s_addc_u32 s3, s3, 0
	s_branch .LBB8_2
.LBB8_1:                                ;   in Loop: Header=BB8_2 Depth=1
	s_andn2_b64 vcc, exec, s[8:9]
	s_cbranch_vccz .LBB8_4
.LBB8_2:                                ; =>This Inner Loop Header: Depth=1
	s_add_i32 s0, s0, 1
	s_mov_b64 s[4:5], -1
	s_cmp_ge_i32 s0, s11
	s_mov_b64 s[8:9], -1
	s_cbranch_scc1 .LBB8_1
; %bb.3:                                ;   in Loop: Header=BB8_2 Depth=1
	s_load_dword s1, s[2:3], 0x0
	s_mov_b64 s[4:5], 0
	s_waitcnt lgkmcnt(0)
	s_cmp_lt_i32 s1, 0
	s_cselect_b64 s[8:9], -1, 0
	s_add_u32 s2, s2, 4
	s_addc_u32 s3, s3, 0
	s_branch .LBB8_1
.LBB8_4:
	s_andn2_b64 vcc, exec, s[4:5]
	s_cbranch_vccz .LBB8_6
; %bb.5:
	v_mov_b32_e32 v0, 0
	v_mov_b32_e32 v1, s0
	s_mov_b32 s10, s0
	global_store_dword v0, v1, s[2:3] offset:-4
.LBB8_6:
	v_mov_b32_e32 v0, 0
	v_mov_b32_e32 v1, s10
	global_store_dword v0, v1, s[6:7]
	s_endpgm
	.section	.rodata,"a",@progbits
	.p2align	6, 0x0
	.amdhsa_kernel _Z27kernel_updateRepresentativePiS_i
		.amdhsa_group_segment_fixed_size 0
		.amdhsa_private_segment_fixed_size 0
		.amdhsa_kernarg_size 20
		.amdhsa_user_sgpr_count 2
		.amdhsa_user_sgpr_dispatch_ptr 0
		.amdhsa_user_sgpr_queue_ptr 0
		.amdhsa_user_sgpr_kernarg_segment_ptr 1
		.amdhsa_user_sgpr_dispatch_id 0
		.amdhsa_user_sgpr_kernarg_preload_length 0
		.amdhsa_user_sgpr_kernarg_preload_offset 0
		.amdhsa_user_sgpr_private_segment_size 0
		.amdhsa_uses_dynamic_stack 0
		.amdhsa_enable_private_segment 0
		.amdhsa_system_sgpr_workgroup_id_x 1
		.amdhsa_system_sgpr_workgroup_id_y 0
		.amdhsa_system_sgpr_workgroup_id_z 0
		.amdhsa_system_sgpr_workgroup_info 0
		.amdhsa_system_vgpr_workitem_id 0
		.amdhsa_next_free_vgpr 2
		.amdhsa_next_free_sgpr 12
		.amdhsa_accum_offset 4
		.amdhsa_reserve_vcc 1
		.amdhsa_float_round_mode_32 0
		.amdhsa_float_round_mode_16_64 0
		.amdhsa_float_denorm_mode_32 3
		.amdhsa_float_denorm_mode_16_64 3
		.amdhsa_dx10_clamp 1
		.amdhsa_ieee_mode 1
		.amdhsa_fp16_overflow 0
		.amdhsa_tg_split 0
		.amdhsa_exception_fp_ieee_invalid_op 0
		.amdhsa_exception_fp_denorm_src 0
		.amdhsa_exception_fp_ieee_div_zero 0
		.amdhsa_exception_fp_ieee_overflow 0
		.amdhsa_exception_fp_ieee_underflow 0
		.amdhsa_exception_fp_ieee_inexact 0
		.amdhsa_exception_int_div_zero 0
	.end_amdhsa_kernel
	.text
.Lfunc_end8:
	.size	_Z27kernel_updateRepresentativePiS_i, .Lfunc_end8-_Z27kernel_updateRepresentativePiS_i
                                        ; -- End function
	.set _Z27kernel_updateRepresentativePiS_i.num_vgpr, 2
	.set _Z27kernel_updateRepresentativePiS_i.num_agpr, 0
	.set _Z27kernel_updateRepresentativePiS_i.numbered_sgpr, 12
	.set _Z27kernel_updateRepresentativePiS_i.num_named_barrier, 0
	.set _Z27kernel_updateRepresentativePiS_i.private_seg_size, 0
	.set _Z27kernel_updateRepresentativePiS_i.uses_vcc, 1
	.set _Z27kernel_updateRepresentativePiS_i.uses_flat_scratch, 0
	.set _Z27kernel_updateRepresentativePiS_i.has_dyn_sized_stack, 0
	.set _Z27kernel_updateRepresentativePiS_i.has_recursion, 0
	.set _Z27kernel_updateRepresentativePiS_i.has_indirect_call, 0
	.section	.AMDGPU.csdata,"",@progbits
; Kernel info:
; codeLenInByte = 180
; TotalNumSgprs: 18
; NumVgprs: 2
; NumAgprs: 0
; TotalNumVgprs: 2
; ScratchSize: 0
; MemoryBound: 0
; FloatMode: 240
; IeeeMode: 1
; LDSByteSize: 0 bytes/workgroup (compile time only)
; SGPRBlocks: 2
; VGPRBlocks: 0
; NumSGPRsForWavesPerEU: 18
; NumVGPRsForWavesPerEU: 2
; AccumOffset: 4
; Occupancy: 8
; WaveLimiterHint : 0
; COMPUTE_PGM_RSRC2:SCRATCH_EN: 0
; COMPUTE_PGM_RSRC2:USER_SGPR: 2
; COMPUTE_PGM_RSRC2:TRAP_HANDLER: 0
; COMPUTE_PGM_RSRC2:TGID_X_EN: 1
; COMPUTE_PGM_RSRC2:TGID_Y_EN: 0
; COMPUTE_PGM_RSRC2:TGID_Z_EN: 0
; COMPUTE_PGM_RSRC2:TIDIG_COMP_CNT: 0
; COMPUTE_PGM_RSRC3_GFX90A:ACCUM_OFFSET: 0
; COMPUTE_PGM_RSRC3_GFX90A:TG_SPLIT: 0
	.text
	.protected	_Z16kernel_makeTablePKlPKtS2_S0_Pti ; -- Begin function _Z16kernel_makeTablePKlPKtS2_S0_Pti
	.globl	_Z16kernel_makeTablePKlPKtS2_S0_Pti
	.p2align	8
	.type	_Z16kernel_makeTablePKlPKtS2_S0_Pti,@function
_Z16kernel_makeTablePKlPKtS2_S0_Pti:    ; @_Z16kernel_makeTablePKlPKtS2_S0_Pti
; %bb.0:
	s_load_dword s12, s[0:1], 0x28
	s_load_dword s3, s[0:1], 0x3c
	s_load_dwordx8 s[4:11], s[0:1], 0x0
	s_waitcnt lgkmcnt(0)
	s_ashr_i32 s13, s12, 31
	s_and_b32 s3, s3, 0xffff
	s_lshl_b64 s[12:13], s[12:13], 3
	s_add_u32 s4, s4, s12
	s_addc_u32 s5, s5, s13
	s_load_dword s14, s[4:5], 0x0
	s_add_u32 s4, s10, s12
	s_addc_u32 s5, s11, s13
	s_load_dword s10, s[4:5], 0x0
	s_mul_i32 s2, s2, s3
	s_waitcnt lgkmcnt(0)
	s_add_i32 s2, s14, s2
	v_add_u32_e32 v0, s2, v0
	s_add_i32 s10, s10, s14
	v_cmp_gt_i32_e32 vcc, s10, v0
	s_and_saveexec_b64 s[2:3], vcc
	s_cbranch_execz .LBB9_5
; %bb.1:
	s_load_dwordx2 s[0:1], s[0:1], 0x20
	v_ashrrev_i32_e32 v1, 31, v0
	v_lshlrev_b64 v[4:5], 1, v[0:1]
	v_lshl_add_u64 v[2:3], s[8:9], 0, v[4:5]
	v_lshl_add_u64 v[4:5], s[6:7], 0, v[4:5]
	s_mov_b64 s[2:3], 0
	s_mov_b64 s[4:5], 0x8000
	s_branch .LBB9_3
.LBB9_2:                                ;   in Loop: Header=BB9_3 Depth=1
	s_or_b64 exec, exec, s[6:7]
	v_add_u32_e32 v0, 0x4000, v0
	v_cmp_le_i32_e32 vcc, s10, v0
	v_lshl_add_u64 v[2:3], v[2:3], 0, s[4:5]
	s_or_b64 s[2:3], vcc, s[2:3]
	v_lshl_add_u64 v[4:5], v[4:5], 0, s[4:5]
	s_andn2_b64 exec, exec, s[2:3]
	s_cbranch_execz .LBB9_5
.LBB9_3:                                ; =>This Inner Loop Header: Depth=1
	global_load_ushort v1, v[2:3], off
	s_waitcnt vmcnt(0)
	v_cmp_ne_u16_e32 vcc, 0, v1
	s_and_saveexec_b64 s[6:7], vcc
	s_cbranch_execz .LBB9_2
; %bb.4:                                ;   in Loop: Header=BB9_3 Depth=1
	global_load_ushort v6, v[4:5], off
	s_waitcnt vmcnt(0)
	v_lshlrev_b32_e32 v6, 1, v6
	s_waitcnt lgkmcnt(0)
	global_store_short v6, v1, s[0:1]
	s_branch .LBB9_2
.LBB9_5:
	s_endpgm
	.section	.rodata,"a",@progbits
	.p2align	6, 0x0
	.amdhsa_kernel _Z16kernel_makeTablePKlPKtS2_S0_Pti
		.amdhsa_group_segment_fixed_size 0
		.amdhsa_private_segment_fixed_size 0
		.amdhsa_kernarg_size 304
		.amdhsa_user_sgpr_count 2
		.amdhsa_user_sgpr_dispatch_ptr 0
		.amdhsa_user_sgpr_queue_ptr 0
		.amdhsa_user_sgpr_kernarg_segment_ptr 1
		.amdhsa_user_sgpr_dispatch_id 0
		.amdhsa_user_sgpr_kernarg_preload_length 0
		.amdhsa_user_sgpr_kernarg_preload_offset 0
		.amdhsa_user_sgpr_private_segment_size 0
		.amdhsa_uses_dynamic_stack 0
		.amdhsa_enable_private_segment 0
		.amdhsa_system_sgpr_workgroup_id_x 1
		.amdhsa_system_sgpr_workgroup_id_y 0
		.amdhsa_system_sgpr_workgroup_id_z 0
		.amdhsa_system_sgpr_workgroup_info 0
		.amdhsa_system_vgpr_workitem_id 0
		.amdhsa_next_free_vgpr 7
		.amdhsa_next_free_sgpr 15
		.amdhsa_accum_offset 8
		.amdhsa_reserve_vcc 1
		.amdhsa_float_round_mode_32 0
		.amdhsa_float_round_mode_16_64 0
		.amdhsa_float_denorm_mode_32 3
		.amdhsa_float_denorm_mode_16_64 3
		.amdhsa_dx10_clamp 1
		.amdhsa_ieee_mode 1
		.amdhsa_fp16_overflow 0
		.amdhsa_tg_split 0
		.amdhsa_exception_fp_ieee_invalid_op 0
		.amdhsa_exception_fp_denorm_src 0
		.amdhsa_exception_fp_ieee_div_zero 0
		.amdhsa_exception_fp_ieee_overflow 0
		.amdhsa_exception_fp_ieee_underflow 0
		.amdhsa_exception_fp_ieee_inexact 0
		.amdhsa_exception_int_div_zero 0
	.end_amdhsa_kernel
	.text
.Lfunc_end9:
	.size	_Z16kernel_makeTablePKlPKtS2_S0_Pti, .Lfunc_end9-_Z16kernel_makeTablePKlPKtS2_S0_Pti
                                        ; -- End function
	.set _Z16kernel_makeTablePKlPKtS2_S0_Pti.num_vgpr, 7
	.set _Z16kernel_makeTablePKlPKtS2_S0_Pti.num_agpr, 0
	.set _Z16kernel_makeTablePKlPKtS2_S0_Pti.numbered_sgpr, 15
	.set _Z16kernel_makeTablePKlPKtS2_S0_Pti.num_named_barrier, 0
	.set _Z16kernel_makeTablePKlPKtS2_S0_Pti.private_seg_size, 0
	.set _Z16kernel_makeTablePKlPKtS2_S0_Pti.uses_vcc, 1
	.set _Z16kernel_makeTablePKlPKtS2_S0_Pti.uses_flat_scratch, 0
	.set _Z16kernel_makeTablePKlPKtS2_S0_Pti.has_dyn_sized_stack, 0
	.set _Z16kernel_makeTablePKlPKtS2_S0_Pti.has_recursion, 0
	.set _Z16kernel_makeTablePKlPKtS2_S0_Pti.has_indirect_call, 0
	.section	.AMDGPU.csdata,"",@progbits
; Kernel info:
; codeLenInByte = 264
; TotalNumSgprs: 21
; NumVgprs: 7
; NumAgprs: 0
; TotalNumVgprs: 7
; ScratchSize: 0
; MemoryBound: 0
; FloatMode: 240
; IeeeMode: 1
; LDSByteSize: 0 bytes/workgroup (compile time only)
; SGPRBlocks: 2
; VGPRBlocks: 0
; NumSGPRsForWavesPerEU: 21
; NumVGPRsForWavesPerEU: 7
; AccumOffset: 8
; Occupancy: 8
; WaveLimiterHint : 1
; COMPUTE_PGM_RSRC2:SCRATCH_EN: 0
; COMPUTE_PGM_RSRC2:USER_SGPR: 2
; COMPUTE_PGM_RSRC2:TRAP_HANDLER: 0
; COMPUTE_PGM_RSRC2:TGID_X_EN: 1
; COMPUTE_PGM_RSRC2:TGID_Y_EN: 0
; COMPUTE_PGM_RSRC2:TGID_Z_EN: 0
; COMPUTE_PGM_RSRC2:TIDIG_COMP_CNT: 0
; COMPUTE_PGM_RSRC3_GFX90A:ACCUM_OFFSET: 1
; COMPUTE_PGM_RSRC3_GFX90A:TG_SPLIT: 0
	.text
	.protected	_Z17kernel_cleanTablePKlPKtS2_S0_Pti ; -- Begin function _Z17kernel_cleanTablePKlPKtS2_S0_Pti
	.globl	_Z17kernel_cleanTablePKlPKtS2_S0_Pti
	.p2align	8
	.type	_Z17kernel_cleanTablePKlPKtS2_S0_Pti,@function
_Z17kernel_cleanTablePKlPKtS2_S0_Pti:   ; @_Z17kernel_cleanTablePKlPKtS2_S0_Pti
; %bb.0:
	s_load_dword s12, s[0:1], 0x28
	s_load_dword s3, s[0:1], 0x3c
	s_load_dwordx8 s[4:11], s[0:1], 0x0
	s_waitcnt lgkmcnt(0)
	s_ashr_i32 s13, s12, 31
	s_and_b32 s3, s3, 0xffff
	s_lshl_b64 s[12:13], s[12:13], 3
	s_add_u32 s4, s4, s12
	s_addc_u32 s5, s5, s13
	s_load_dword s14, s[4:5], 0x0
	s_add_u32 s4, s10, s12
	s_addc_u32 s5, s11, s13
	s_load_dword s10, s[4:5], 0x0
	s_mul_i32 s2, s2, s3
	s_waitcnt lgkmcnt(0)
	s_add_i32 s2, s14, s2
	v_add_u32_e32 v0, s2, v0
	s_add_i32 s10, s10, s14
	v_cmp_gt_i32_e32 vcc, s10, v0
	s_and_saveexec_b64 s[2:3], vcc
	s_cbranch_execz .LBB10_5
; %bb.1:
	s_load_dwordx2 s[0:1], s[0:1], 0x20
	v_ashrrev_i32_e32 v1, 31, v0
	v_lshlrev_b64 v[4:5], 1, v[0:1]
	v_lshl_add_u64 v[2:3], s[8:9], 0, v[4:5]
	v_lshl_add_u64 v[4:5], s[6:7], 0, v[4:5]
	s_mov_b64 s[2:3], 0
	v_mov_b32_e32 v1, 0
	s_mov_b64 s[4:5], 0x8000
	s_branch .LBB10_3
.LBB10_2:                               ;   in Loop: Header=BB10_3 Depth=1
	s_or_b64 exec, exec, s[6:7]
	v_add_u32_e32 v0, 0x4000, v0
	v_cmp_le_i32_e32 vcc, s10, v0
	v_lshl_add_u64 v[2:3], v[2:3], 0, s[4:5]
	s_or_b64 s[2:3], vcc, s[2:3]
	v_lshl_add_u64 v[4:5], v[4:5], 0, s[4:5]
	s_andn2_b64 exec, exec, s[2:3]
	s_cbranch_execz .LBB10_5
.LBB10_3:                               ; =>This Inner Loop Header: Depth=1
	global_load_ushort v6, v[2:3], off
	s_waitcnt vmcnt(0)
	v_cmp_ne_u16_e32 vcc, 0, v6
	s_and_saveexec_b64 s[6:7], vcc
	s_cbranch_execz .LBB10_2
; %bb.4:                                ;   in Loop: Header=BB10_3 Depth=1
	global_load_ushort v6, v[4:5], off
	s_waitcnt vmcnt(0)
	v_lshlrev_b32_e32 v6, 1, v6
	s_waitcnt lgkmcnt(0)
	global_store_short v6, v1, s[0:1]
	s_branch .LBB10_2
.LBB10_5:
	s_endpgm
	.section	.rodata,"a",@progbits
	.p2align	6, 0x0
	.amdhsa_kernel _Z17kernel_cleanTablePKlPKtS2_S0_Pti
		.amdhsa_group_segment_fixed_size 0
		.amdhsa_private_segment_fixed_size 0
		.amdhsa_kernarg_size 304
		.amdhsa_user_sgpr_count 2
		.amdhsa_user_sgpr_dispatch_ptr 0
		.amdhsa_user_sgpr_queue_ptr 0
		.amdhsa_user_sgpr_kernarg_segment_ptr 1
		.amdhsa_user_sgpr_dispatch_id 0
		.amdhsa_user_sgpr_kernarg_preload_length 0
		.amdhsa_user_sgpr_kernarg_preload_offset 0
		.amdhsa_user_sgpr_private_segment_size 0
		.amdhsa_uses_dynamic_stack 0
		.amdhsa_enable_private_segment 0
		.amdhsa_system_sgpr_workgroup_id_x 1
		.amdhsa_system_sgpr_workgroup_id_y 0
		.amdhsa_system_sgpr_workgroup_id_z 0
		.amdhsa_system_sgpr_workgroup_info 0
		.amdhsa_system_vgpr_workitem_id 0
		.amdhsa_next_free_vgpr 7
		.amdhsa_next_free_sgpr 15
		.amdhsa_accum_offset 8
		.amdhsa_reserve_vcc 1
		.amdhsa_float_round_mode_32 0
		.amdhsa_float_round_mode_16_64 0
		.amdhsa_float_denorm_mode_32 3
		.amdhsa_float_denorm_mode_16_64 3
		.amdhsa_dx10_clamp 1
		.amdhsa_ieee_mode 1
		.amdhsa_fp16_overflow 0
		.amdhsa_tg_split 0
		.amdhsa_exception_fp_ieee_invalid_op 0
		.amdhsa_exception_fp_denorm_src 0
		.amdhsa_exception_fp_ieee_div_zero 0
		.amdhsa_exception_fp_ieee_overflow 0
		.amdhsa_exception_fp_ieee_underflow 0
		.amdhsa_exception_fp_ieee_inexact 0
		.amdhsa_exception_int_div_zero 0
	.end_amdhsa_kernel
	.text
.Lfunc_end10:
	.size	_Z17kernel_cleanTablePKlPKtS2_S0_Pti, .Lfunc_end10-_Z17kernel_cleanTablePKlPKtS2_S0_Pti
                                        ; -- End function
	.set _Z17kernel_cleanTablePKlPKtS2_S0_Pti.num_vgpr, 7
	.set _Z17kernel_cleanTablePKlPKtS2_S0_Pti.num_agpr, 0
	.set _Z17kernel_cleanTablePKlPKtS2_S0_Pti.numbered_sgpr, 15
	.set _Z17kernel_cleanTablePKlPKtS2_S0_Pti.num_named_barrier, 0
	.set _Z17kernel_cleanTablePKlPKtS2_S0_Pti.private_seg_size, 0
	.set _Z17kernel_cleanTablePKlPKtS2_S0_Pti.uses_vcc, 1
	.set _Z17kernel_cleanTablePKlPKtS2_S0_Pti.uses_flat_scratch, 0
	.set _Z17kernel_cleanTablePKlPKtS2_S0_Pti.has_dyn_sized_stack, 0
	.set _Z17kernel_cleanTablePKlPKtS2_S0_Pti.has_recursion, 0
	.set _Z17kernel_cleanTablePKlPKtS2_S0_Pti.has_indirect_call, 0
	.section	.AMDGPU.csdata,"",@progbits
; Kernel info:
; codeLenInByte = 268
; TotalNumSgprs: 21
; NumVgprs: 7
; NumAgprs: 0
; TotalNumVgprs: 7
; ScratchSize: 0
; MemoryBound: 0
; FloatMode: 240
; IeeeMode: 1
; LDSByteSize: 0 bytes/workgroup (compile time only)
; SGPRBlocks: 2
; VGPRBlocks: 0
; NumSGPRsForWavesPerEU: 21
; NumVGPRsForWavesPerEU: 7
; AccumOffset: 8
; Occupancy: 8
; WaveLimiterHint : 1
; COMPUTE_PGM_RSRC2:SCRATCH_EN: 0
; COMPUTE_PGM_RSRC2:USER_SGPR: 2
; COMPUTE_PGM_RSRC2:TRAP_HANDLER: 0
; COMPUTE_PGM_RSRC2:TGID_X_EN: 1
; COMPUTE_PGM_RSRC2:TGID_Y_EN: 0
; COMPUTE_PGM_RSRC2:TGID_Z_EN: 0
; COMPUTE_PGM_RSRC2:TIDIG_COMP_CNT: 0
; COMPUTE_PGM_RSRC3_GFX90A:ACCUM_OFFSET: 1
; COMPUTE_PGM_RSRC3_GFX90A:TG_SPLIT: 0
	.text
	.protected	_Z12kernel_magicfPKiS0_Piii ; -- Begin function _Z12kernel_magicfPKiS0_Piii
	.globl	_Z12kernel_magicfPKiS0_Piii
	.p2align	8
	.type	_Z12kernel_magicfPKiS0_Piii,@function
_Z12kernel_magicfPKiS0_Piii:            ; @_Z12kernel_magicfPKiS0_Piii
; %bb.0:
	s_load_dword s3, s[0:1], 0x34
	s_load_dwordx2 s[4:5], s[0:1], 0x20
	s_waitcnt lgkmcnt(0)
	s_and_b32 s3, s3, 0xffff
	s_mul_i32 s2, s2, s3
	v_add_u32_e32 v2, s2, v0
	v_cmp_gt_i32_e32 vcc, s5, v2
	s_and_saveexec_b64 s[2:3], vcc
	s_cbranch_execz .LBB11_4
; %bb.1:
	s_load_dwordx2 s[2:3], s[0:1], 0x18
	v_ashrrev_i32_e32 v3, 31, v2
	s_waitcnt lgkmcnt(0)
	v_lshl_add_u64 v[0:1], v[2:3], 2, s[2:3]
	global_load_dword v4, v[0:1], off
	s_waitcnt vmcnt(0)
	v_cmp_gt_i32_e32 vcc, 0, v4
	s_and_b64 exec, exec, vcc
	s_cbranch_execz .LBB11_4
; %bb.2:
	s_load_dwordx4 s[8:11], s[0:1], 0x8
	s_load_dword s6, s[0:1], 0x0
	v_lshlrev_b32_e32 v4, 2, v2
	v_ashrrev_i32_e32 v5, 31, v4
	s_lshl_b32 s0, s4, 2
	s_waitcnt lgkmcnt(0)
	v_mov_b32_e32 v6, s8
	v_mov_b32_e32 v7, s9
	v_lshl_add_u64 v[6:7], v[2:3], 2, v[6:7]
	v_lshl_add_u64 v[8:9], v[4:5], 2, s[10:11]
	global_load_dword v10, v[6:7], off
	global_load_dwordx4 v[2:5], v[8:9], off
	s_ashr_i32 s1, s0, 31
	s_lshl_b64 s[0:1], s[0:1], 2
	s_add_u32 s4, s10, s0
	s_addc_u32 s5, s11, s1
	s_load_dwordx4 s[0:3], s[4:5], 0x0
	s_waitcnt vmcnt(1)
	v_cvt_f32_i32_e32 v6, v10
	s_waitcnt vmcnt(0) lgkmcnt(0)
	v_min_i32_e32 v2, s0, v2
	v_min_i32_e32 v3, s1, v3
	v_add_u32_e32 v2, v3, v2
	v_mul_f32_e32 v3, s6, v6
	v_ceil_f32_e32 v3, v3
	v_cvt_i32_f32_e32 v3, v3
	v_min_i32_e32 v4, s2, v4
	v_min_i32_e32 v5, s3, v5
	v_add3_u32 v2, v2, v4, v5
	v_cmp_gt_i32_e32 vcc, v2, v3
	s_and_b64 exec, exec, vcc
	s_cbranch_execz .LBB11_4
; %bb.3:
	v_mov_b32_e32 v2, -2
	global_store_dword v[0:1], v2, off
.LBB11_4:
	s_endpgm
	.section	.rodata,"a",@progbits
	.p2align	6, 0x0
	.amdhsa_kernel _Z12kernel_magicfPKiS0_Piii
		.amdhsa_group_segment_fixed_size 0
		.amdhsa_private_segment_fixed_size 0
		.amdhsa_kernarg_size 296
		.amdhsa_user_sgpr_count 2
		.amdhsa_user_sgpr_dispatch_ptr 0
		.amdhsa_user_sgpr_queue_ptr 0
		.amdhsa_user_sgpr_kernarg_segment_ptr 1
		.amdhsa_user_sgpr_dispatch_id 0
		.amdhsa_user_sgpr_kernarg_preload_length 0
		.amdhsa_user_sgpr_kernarg_preload_offset 0
		.amdhsa_user_sgpr_private_segment_size 0
		.amdhsa_uses_dynamic_stack 0
		.amdhsa_enable_private_segment 0
		.amdhsa_system_sgpr_workgroup_id_x 1
		.amdhsa_system_sgpr_workgroup_id_y 0
		.amdhsa_system_sgpr_workgroup_id_z 0
		.amdhsa_system_sgpr_workgroup_info 0
		.amdhsa_system_vgpr_workitem_id 0
		.amdhsa_next_free_vgpr 11
		.amdhsa_next_free_sgpr 12
		.amdhsa_accum_offset 12
		.amdhsa_reserve_vcc 1
		.amdhsa_float_round_mode_32 0
		.amdhsa_float_round_mode_16_64 0
		.amdhsa_float_denorm_mode_32 3
		.amdhsa_float_denorm_mode_16_64 3
		.amdhsa_dx10_clamp 1
		.amdhsa_ieee_mode 1
		.amdhsa_fp16_overflow 0
		.amdhsa_tg_split 0
		.amdhsa_exception_fp_ieee_invalid_op 0
		.amdhsa_exception_fp_denorm_src 0
		.amdhsa_exception_fp_ieee_div_zero 0
		.amdhsa_exception_fp_ieee_overflow 0
		.amdhsa_exception_fp_ieee_underflow 0
		.amdhsa_exception_fp_ieee_inexact 0
		.amdhsa_exception_int_div_zero 0
	.end_amdhsa_kernel
	.text
.Lfunc_end11:
	.size	_Z12kernel_magicfPKiS0_Piii, .Lfunc_end11-_Z12kernel_magicfPKiS0_Piii
                                        ; -- End function
	.set _Z12kernel_magicfPKiS0_Piii.num_vgpr, 11
	.set _Z12kernel_magicfPKiS0_Piii.num_agpr, 0
	.set _Z12kernel_magicfPKiS0_Piii.numbered_sgpr, 12
	.set _Z12kernel_magicfPKiS0_Piii.num_named_barrier, 0
	.set _Z12kernel_magicfPKiS0_Piii.private_seg_size, 0
	.set _Z12kernel_magicfPKiS0_Piii.uses_vcc, 1
	.set _Z12kernel_magicfPKiS0_Piii.uses_flat_scratch, 0
	.set _Z12kernel_magicfPKiS0_Piii.has_dyn_sized_stack, 0
	.set _Z12kernel_magicfPKiS0_Piii.has_recursion, 0
	.set _Z12kernel_magicfPKiS0_Piii.has_indirect_call, 0
	.section	.AMDGPU.csdata,"",@progbits
; Kernel info:
; codeLenInByte = 272
; TotalNumSgprs: 18
; NumVgprs: 11
; NumAgprs: 0
; TotalNumVgprs: 11
; ScratchSize: 0
; MemoryBound: 0
; FloatMode: 240
; IeeeMode: 1
; LDSByteSize: 0 bytes/workgroup (compile time only)
; SGPRBlocks: 2
; VGPRBlocks: 1
; NumSGPRsForWavesPerEU: 18
; NumVGPRsForWavesPerEU: 11
; AccumOffset: 12
; Occupancy: 8
; WaveLimiterHint : 0
; COMPUTE_PGM_RSRC2:SCRATCH_EN: 0
; COMPUTE_PGM_RSRC2:USER_SGPR: 2
; COMPUTE_PGM_RSRC2:TRAP_HANDLER: 0
; COMPUTE_PGM_RSRC2:TGID_X_EN: 1
; COMPUTE_PGM_RSRC2:TGID_Y_EN: 0
; COMPUTE_PGM_RSRC2:TGID_Z_EN: 0
; COMPUTE_PGM_RSRC2:TIDIG_COMP_CNT: 0
; COMPUTE_PGM_RSRC3_GFX90A:ACCUM_OFFSET: 2
; COMPUTE_PGM_RSRC3_GFX90A:TG_SPLIT: 0
	.text
	.protected	_Z13kernel_filterfiPKiPKlPKtS4_S2_S0_PiS4_i ; -- Begin function _Z13kernel_filterfiPKiPKlPKtS4_S2_S0_PiS4_i
	.globl	_Z13kernel_filterfiPKiPKlPKtS4_S2_S0_PiS4_i
	.p2align	8
	.type	_Z13kernel_filterfiPKiPKlPKtS4_S2_S0_PiS4_i,@function
_Z13kernel_filterfiPKiPKlPKtS4_S2_S0_PiS4_i: ; @_Z13kernel_filterfiPKiPKlPKtS4_S2_S0_PiS4_i
; %bb.0:
	s_load_dword s3, s[0:1], 0x48
	s_waitcnt lgkmcnt(0)
	s_cmp_ge_i32 s2, s3
	s_cbranch_scc1 .LBB12_14
; %bb.1:
	s_load_dwordx4 s[12:15], s[0:1], 0x30
	s_ashr_i32 s3, s2, 31
	s_lshl_b64 s[20:21], s[2:3], 2
	s_waitcnt lgkmcnt(0)
	s_add_u32 s14, s14, s20
	s_addc_u32 s15, s15, s21
	s_load_dword s4, s[14:15], 0x0
	s_waitcnt lgkmcnt(0)
	s_cmp_lg_u32 s4, -2
	s_cbranch_scc1 .LBB12_14
; %bb.2:
	s_load_dwordx8 s[4:11], s[0:1], 0x10
	s_lshl_b64 s[16:17], s[2:3], 3
	v_lshlrev_b32_e32 v1, 2, v0
	v_mov_b32_e32 v8, 0
	s_waitcnt lgkmcnt(0)
	s_add_u32 s2, s4, s16
	s_addc_u32 s3, s5, s17
	s_add_u32 s4, s10, s16
	s_load_dword s2, s[2:3], 0x0
	s_addc_u32 s5, s11, s17
	s_load_dword s10, s[4:5], 0x0
	s_load_dwordx4 s[16:19], s[0:1], 0x40
	ds_write_b32 v1, v8
	s_waitcnt lgkmcnt(0)
	v_add_u32_e32 v2, s2, v0
	s_add_i32 s10, s10, s2
	v_cmp_gt_i32_e32 vcc, s10, v2
	s_and_saveexec_b64 s[0:1], vcc
	s_cbranch_execz .LBB12_12
; %bb.3:
	v_add_u32_e32 v3, 0x80, v2
	v_max_i32_e32 v4, s10, v3
	v_xad_u32 v4, v0, -1, v4
	v_subrev_u32_e32 v4, s2, v4
	s_movk_i32 s2, 0x7f
	v_cmp_lt_u32_e32 vcc, s2, v4
	s_mov_b64 s[4:5], -1
	s_and_saveexec_b64 s[2:3], vcc
	s_cbranch_execz .LBB12_7
; %bb.4:
	v_lshrrev_b32_e32 v4, 7, v4
	v_add_u32_e32 v6, 1, v4
	v_and_b32_e32 v7, 0x3fffffe, v6
	v_mov_b32_e32 v8, 0
	s_mov_b64 s[4:5], 0
	s_mov_b32 s11, 0x5040100
	v_mov_b32_e32 v9, 1
	v_mov_b32_e32 v10, v7
	v_mov_b64_e32 v[4:5], v[2:3]
	v_mov_b32_e32 v3, 0
.LBB12_5:                               ; =>This Inner Loop Header: Depth=1
	v_ashrrev_i32_e32 v15, 31, v4
	v_mov_b32_e32 v14, v4
	v_ashrrev_i32_e32 v13, 31, v5
	v_mov_b32_e32 v12, v5
	v_lshlrev_b64 v[14:15], 1, v[14:15]
	v_lshlrev_b64 v[12:13], 1, v[12:13]
	v_lshl_add_u64 v[16:17], s[6:7], 0, v[14:15]
	v_lshl_add_u64 v[18:19], s[6:7], 0, v[12:13]
	global_load_ushort v11, v[16:17], off
	global_load_ushort v20, v[18:19], off
	v_lshl_add_u64 v[14:15], s[8:9], 0, v[14:15]
	v_lshl_add_u64 v[12:13], s[8:9], 0, v[12:13]
	global_load_ushort v16, v[14:15], off
	global_load_ushort v17, v[12:13], off
	v_add_u32_e32 v10, -2, v10
	v_cmp_eq_u32_e32 vcc, 0, v10
	v_add_u32_e32 v5, 0x100, v5
	v_add_u32_e32 v4, 0x100, v4
	s_or_b64 s[4:5], vcc, s[4:5]
	s_waitcnt vmcnt(3)
	v_lshlrev_b32_sdwa v11, v9, v11 dst_sel:DWORD dst_unused:UNUSED_PAD src0_sel:DWORD src1_sel:WORD_0
	s_waitcnt vmcnt(2)
	v_lshlrev_b32_sdwa v12, v9, v20 dst_sel:DWORD dst_unused:UNUSED_PAD src0_sel:DWORD src1_sel:WORD_0
	global_load_ushort v13, v11, s[16:17]
	global_load_ushort v14, v12, s[16:17]
	s_waitcnt vmcnt(2)
	v_perm_b32 v11, v17, v16, s11
	s_waitcnt vmcnt(0)
	v_perm_b32 v12, v14, v13, s11
	v_pk_min_u16 v11, v12, v11
	s_nop 0
	v_add_u32_sdwa v3, v3, v11 dst_sel:DWORD dst_unused:UNUSED_PAD src0_sel:DWORD src1_sel:WORD_1
	v_add_u32_sdwa v8, v8, v11 dst_sel:DWORD dst_unused:UNUSED_PAD src0_sel:DWORD src1_sel:WORD_0
	s_andn2_b64 exec, exec, s[4:5]
	s_cbranch_execnz .LBB12_5
; %bb.6:
	s_or_b64 exec, exec, s[4:5]
	v_cmp_ne_u32_e32 vcc, v6, v7
	v_lshl_add_u32 v2, v7, 7, v2
	v_add_u32_e32 v8, v8, v3
	s_orn2_b64 s[4:5], vcc, exec
.LBB12_7:
	s_or_b64 exec, exec, s[2:3]
	s_and_saveexec_b64 s[2:3], s[4:5]
	s_cbranch_execz .LBB12_11
; %bb.8:
	v_ashrrev_i32_e32 v3, 31, v2
	v_lshlrev_b64 v[6:7], 1, v[2:3]
	v_lshl_add_u64 v[4:5], s[6:7], 0, v[6:7]
	v_lshl_add_u64 v[6:7], s[8:9], 0, v[6:7]
	s_mov_b64 s[4:5], 0
	s_mov_b64 s[6:7], 0x100
.LBB12_9:                               ; =>This Inner Loop Header: Depth=1
	global_load_ushort v3, v[4:5], off
	global_load_ushort v9, v[6:7], off
	v_add_u32_e32 v2, 0x80, v2
	v_cmp_le_i32_e32 vcc, s10, v2
	v_lshl_add_u64 v[4:5], v[4:5], 0, s[6:7]
	v_lshl_add_u64 v[6:7], v[6:7], 0, s[6:7]
	s_or_b64 s[4:5], vcc, s[4:5]
	s_waitcnt vmcnt(1)
	v_lshlrev_b32_e32 v3, 1, v3
	global_load_ushort v3, v3, s[16:17]
	s_waitcnt vmcnt(0)
	v_min_u16_e32 v3, v3, v9
	v_add_u32_e32 v8, v8, v3
	s_andn2_b64 exec, exec, s[4:5]
	s_cbranch_execnz .LBB12_9
; %bb.10:
	s_or_b64 exec, exec, s[4:5]
.LBB12_11:
	s_or_b64 exec, exec, s[2:3]
	ds_write_b32 v1, v8
.LBB12_12:
	s_or_b64 exec, exec, s[0:1]
	v_cmp_eq_u32_e32 vcc, 0, v0
	s_waitcnt lgkmcnt(0)
	s_barrier
	s_and_saveexec_b64 s[0:1], vcc
	s_cbranch_execz .LBB12_14
; %bb.13:
	v_mov_b32_e32 v0, 0
	ds_read_b128 v[2:5], v0
	ds_read_b128 v[6:9], v0 offset:16
	ds_read_b128 v[10:13], v0 offset:32
	ds_read_b128 v[14:17], v0 offset:48
	ds_read_b128 v[18:21], v0 offset:64
	s_waitcnt lgkmcnt(4)
	v_add_u32_e32 v1, v2, v3
	v_add_u32_e32 v1, v1, v4
	v_add_u32_e32 v1, v1, v5
	s_waitcnt lgkmcnt(3)
	v_add_u32_e32 v1, v1, v6
	v_add_u32_e32 v1, v1, v7
	v_add_u32_e32 v1, v1, v8
	v_add_u32_e32 v1, v1, v9
	s_waitcnt lgkmcnt(2)
	v_add_u32_e32 v1, v1, v10
	;; [unrolled: 5-line block ×3, first 2 shown]
	v_add_u32_e32 v1, v1, v15
	v_add_u32_e32 v1, v1, v16
	;; [unrolled: 1-line block ×3, first 2 shown]
	ds_read_b128 v[2:5], v0 offset:80
	ds_read_b128 v[6:9], v0 offset:96
	s_waitcnt lgkmcnt(2)
	v_add_u32_e32 v1, v1, v18
	v_add_u32_e32 v1, v1, v19
	;; [unrolled: 1-line block ×4, first 2 shown]
	s_waitcnt lgkmcnt(1)
	v_add_u32_e32 v1, v1, v2
	v_add_u32_e32 v1, v1, v3
	v_add_u32_e32 v1, v1, v4
	v_add_u32_e32 v1, v1, v5
	ds_read_b128 v[2:5], v0 offset:112
	s_waitcnt lgkmcnt(1)
	v_add_u32_e32 v1, v1, v6
	v_add_u32_e32 v1, v1, v7
	v_add_u32_e32 v1, v1, v8
	v_add_u32_e32 v1, v1, v9
	ds_read_b128 v[6:9], v0 offset:128
	;; [unrolled: 6-line block ×25, first 2 shown]
	s_waitcnt lgkmcnt(1)
	v_add_u32_e32 v1, v1, v6
	v_add_u32_e32 v1, v1, v7
	s_add_u32 s0, s12, s20
	v_add_u32_e32 v1, v1, v8
	s_addc_u32 s1, s13, s21
	v_add_u32_e32 v1, v1, v9
	s_load_dword s0, s[0:1], 0x0
	s_waitcnt lgkmcnt(0)
	v_add_u32_e32 v1, v1, v2
	v_add_u32_e32 v1, v1, v3
	;; [unrolled: 1-line block ×4, first 2 shown]
	v_cmp_lt_i32_e32 vcc, s0, v1
	ds_write_b32 v0, v1
	s_nop 0
	v_cndmask_b32_e64 v1, -1, -3, vcc
	s_waitcnt lgkmcnt(0)
	global_store_dword v0, v1, s[14:15]
.LBB12_14:
	s_endpgm
	.section	.rodata,"a",@progbits
	.p2align	6, 0x0
	.amdhsa_kernel _Z13kernel_filterfiPKiPKlPKtS4_S2_S0_PiS4_i
		.amdhsa_group_segment_fixed_size 512
		.amdhsa_private_segment_fixed_size 0
		.amdhsa_kernarg_size 76
		.amdhsa_user_sgpr_count 2
		.amdhsa_user_sgpr_dispatch_ptr 0
		.amdhsa_user_sgpr_queue_ptr 0
		.amdhsa_user_sgpr_kernarg_segment_ptr 1
		.amdhsa_user_sgpr_dispatch_id 0
		.amdhsa_user_sgpr_kernarg_preload_length 0
		.amdhsa_user_sgpr_kernarg_preload_offset 0
		.amdhsa_user_sgpr_private_segment_size 0
		.amdhsa_uses_dynamic_stack 0
		.amdhsa_enable_private_segment 0
		.amdhsa_system_sgpr_workgroup_id_x 1
		.amdhsa_system_sgpr_workgroup_id_y 0
		.amdhsa_system_sgpr_workgroup_id_z 0
		.amdhsa_system_sgpr_workgroup_info 0
		.amdhsa_system_vgpr_workitem_id 0
		.amdhsa_next_free_vgpr 22
		.amdhsa_next_free_sgpr 22
		.amdhsa_accum_offset 24
		.amdhsa_reserve_vcc 1
		.amdhsa_float_round_mode_32 0
		.amdhsa_float_round_mode_16_64 0
		.amdhsa_float_denorm_mode_32 3
		.amdhsa_float_denorm_mode_16_64 3
		.amdhsa_dx10_clamp 1
		.amdhsa_ieee_mode 1
		.amdhsa_fp16_overflow 0
		.amdhsa_tg_split 0
		.amdhsa_exception_fp_ieee_invalid_op 0
		.amdhsa_exception_fp_denorm_src 0
		.amdhsa_exception_fp_ieee_div_zero 0
		.amdhsa_exception_fp_ieee_overflow 0
		.amdhsa_exception_fp_ieee_underflow 0
		.amdhsa_exception_fp_ieee_inexact 0
		.amdhsa_exception_int_div_zero 0
	.end_amdhsa_kernel
	.text
.Lfunc_end12:
	.size	_Z13kernel_filterfiPKiPKlPKtS4_S2_S0_PiS4_i, .Lfunc_end12-_Z13kernel_filterfiPKiPKlPKtS4_S2_S0_PiS4_i
                                        ; -- End function
	.set _Z13kernel_filterfiPKiPKlPKtS4_S2_S0_PiS4_i.num_vgpr, 22
	.set _Z13kernel_filterfiPKiPKlPKtS4_S2_S0_PiS4_i.num_agpr, 0
	.set _Z13kernel_filterfiPKiPKlPKtS4_S2_S0_PiS4_i.numbered_sgpr, 22
	.set _Z13kernel_filterfiPKiPKlPKtS4_S2_S0_PiS4_i.num_named_barrier, 0
	.set _Z13kernel_filterfiPKiPKlPKtS4_S2_S0_PiS4_i.private_seg_size, 0
	.set _Z13kernel_filterfiPKiPKlPKtS4_S2_S0_PiS4_i.uses_vcc, 1
	.set _Z13kernel_filterfiPKiPKlPKtS4_S2_S0_PiS4_i.uses_flat_scratch, 0
	.set _Z13kernel_filterfiPKiPKlPKtS4_S2_S0_PiS4_i.has_dyn_sized_stack, 0
	.set _Z13kernel_filterfiPKiPKlPKtS4_S2_S0_PiS4_i.has_recursion, 0
	.set _Z13kernel_filterfiPKiPKlPKtS4_S2_S0_PiS4_i.has_indirect_call, 0
	.section	.AMDGPU.csdata,"",@progbits
; Kernel info:
; codeLenInByte = 1632
; TotalNumSgprs: 28
; NumVgprs: 22
; NumAgprs: 0
; TotalNumVgprs: 22
; ScratchSize: 0
; MemoryBound: 0
; FloatMode: 240
; IeeeMode: 1
; LDSByteSize: 512 bytes/workgroup (compile time only)
; SGPRBlocks: 3
; VGPRBlocks: 2
; NumSGPRsForWavesPerEU: 28
; NumVGPRsForWavesPerEU: 22
; AccumOffset: 24
; Occupancy: 8
; WaveLimiterHint : 1
; COMPUTE_PGM_RSRC2:SCRATCH_EN: 0
; COMPUTE_PGM_RSRC2:USER_SGPR: 2
; COMPUTE_PGM_RSRC2:TRAP_HANDLER: 0
; COMPUTE_PGM_RSRC2:TGID_X_EN: 1
; COMPUTE_PGM_RSRC2:TGID_Y_EN: 0
; COMPUTE_PGM_RSRC2:TGID_Z_EN: 0
; COMPUTE_PGM_RSRC2:TIDIG_COMP_CNT: 0
; COMPUTE_PGM_RSRC3_GFX90A:ACCUM_OFFSET: 5
; COMPUTE_PGM_RSRC3_GFX90A:TG_SPLIT: 0
	.text
	.protected	_Z12kernel_alignfPKiPKlPKjS0_iPii ; -- Begin function _Z12kernel_alignfPKiPKlPKjS0_iPii
	.globl	_Z12kernel_alignfPKiPKlPKjS0_iPii
	.p2align	8
	.type	_Z12kernel_alignfPKiPKlPKjS0_iPii,@function
_Z12kernel_alignfPKiPKlPKjS0_iPii:      ; @_Z12kernel_alignfPKiPKlPKjS0_iPii
; %bb.0:
	s_load_dword s3, s[0:1], 0x4c
	s_load_dword s4, s[0:1], 0x38
	s_waitcnt lgkmcnt(0)
	s_and_b32 s3, s3, 0xffff
	s_mul_i32 s2, s2, s3
	v_add_u32_e32 v0, s2, v0
	v_cmp_gt_i32_e32 vcc, s4, v0
	s_and_saveexec_b64 s[2:3], vcc
	s_cbranch_execz .LBB13_55
; %bb.1:
	s_load_dwordx2 s[2:3], s[0:1], 0x30
	v_ashrrev_i32_e32 v1, 31, v0
	s_waitcnt lgkmcnt(0)
	v_lshl_add_u64 v[52:53], v[0:1], 2, s[2:3]
	global_load_dword v2, v[52:53], off
	s_waitcnt vmcnt(0)
	v_cmp_eq_u32_e32 vcc, -3, v2
	s_and_b64 exec, exec, vcc
	s_cbranch_execz .LBB13_55
; %bb.2:
	s_load_dwordx8 s[36:43], s[0:1], 0x8
	v_lshlrev_b64 v[2:3], 2, v[0:1]
	s_load_dword s44, s[0:1], 0x28
	s_waitcnt lgkmcnt(0)
	v_lshl_add_u64 v[4:5], s[36:37], 0, v[2:3]
	v_lshl_add_u64 v[2:3], s[42:43], 0, v[2:3]
	;; [unrolled: 1-line block ×3, first 2 shown]
	global_load_dword v4, v[4:5], off
	s_ashr_i32 s45, s44, 31
	global_load_dword v5, v[2:3], off
	s_lshl_b64 s[2:3], s[44:45], 2
	global_load_dwordx2 v[2:3], v[0:1], off
	s_add_u32 s6, s36, s2
	s_addc_u32 s7, s37, s3
	s_add_u32 s2, s42, s2
	s_addc_u32 s3, s43, s3
	s_load_dword s4, s[2:3], 0x0
	s_lshl_b64 s[2:3], s[44:45], 3
	s_add_u32 s8, s38, s2
	s_addc_u32 s9, s39, s3
	s_load_dwordx2 s[2:3], s[8:9], 0x0
	s_load_dword s5, s[6:7], 0x0
	s_mov_b32 s6, 1
	v_mov_b32_e32 v0, 0
.LBB13_3:                               ; =>This Inner Loop Header: Depth=1
	s_add_i32 s7, s6, 16
	s_add_i32 s7, s7, -1
	scratch_store_byte off, v0, s7
	s_add_i32 s7, s6, 1
	s_cmpk_lt_u32 s6, 0x1770
	s_mov_b32 s6, s7
	s_cbranch_scc1 .LBB13_3
; %bb.4:
	s_mov_b32 s6, 1
	v_mov_b32_e32 v0, 0
.LBB13_5:                               ; =>This Inner Loop Header: Depth=1
	s_add_i32 s7, s6, 0x1780
	s_add_i32 s7, s7, -1
	scratch_store_byte off, v0, s7
	s_add_i32 s7, s6, 1
	s_cmpk_lt_u32 s6, 0x1770
	s_mov_b32 s6, s7
	s_cbranch_scc1 .LBB13_5
; %bb.6:
	s_waitcnt vmcnt(3)
	v_sub_u32_e32 v5, v4, v5
	v_cmp_lt_i32_e32 vcc, -16, v5
	s_and_b64 exec, exec, vcc
	s_cbranch_execz .LBB13_55
; %bb.7:
	s_load_dword s0, s[0:1], 0x0
	v_cvt_f32_i32_e32 v0, v4
	s_waitcnt lgkmcnt(0)
	s_sub_i32 s33, s5, s4
	v_ashrrev_i32_e32 v1, 31, v5
	v_lshrrev_b32_e32 v1, 28, v1
	v_mul_f32_e32 v0, s0, v0
	s_ashr_i32 s0, s3, 31
	s_lshr_b32 s0, s0, 28
	s_add_u32 s0, s2, s0
	s_addc_u32 s1, s3, 0
	s_lshr_b64 s[38:39], s[0:1], 4
	s_ashr_i32 s0, s33, 31
	v_ceil_f32_e32 v0, v0
	s_lshr_b32 s0, s0, 28
	v_cvt_i32_f32_e32 v17, v0
	s_waitcnt vmcnt(2)
	v_ashrrev_i32_e32 v0, 31, v3
	s_add_i32 s0, s33, s0
	v_add_u32_e32 v4, v5, v1
	v_lshrrev_b32_e32 v0, 28, v0
	v_mov_b32_e32 v1, 0
	s_ashr_i32 s39, s0, 4
	v_lshl_add_u64 v[2:3], v[2:3], 0, v[0:1]
	s_cmp_gt_i32 s33, -16
	v_and_b32_e32 v0, -16, v4
	v_ashrrev_i32_e32 v19, 4, v4
	v_alignbit_b32 v55, v3, v2, 4
	s_cselect_b64 s[42:43], -1, 0
	v_sub_u32_e32 v54, v5, v0
	s_mov_b64 s[46:47], 0
	v_mov_b32_e32 v58, 0x1780
	v_mov_b32_e32 v59, 0
	;; [unrolled: 1-line block ×3, first 2 shown]
	s_branch .LBB13_11
.LBB13_8:                               ;   in Loop: Header=BB13_11 Depth=1
	s_or_b64 exec, exec, s[12:13]
.LBB13_9:                               ;   in Loop: Header=BB13_11 Depth=1
	v_cmp_ne_u32_e32 vcc, 23, v11
	s_nop 1
	v_cndmask_b32_e32 v5, 0, v11, vcc
.LBB13_10:                              ;   in Loop: Header=BB13_11 Depth=1
	s_or_b64 exec, exec, s[10:11]
	v_cmp_ne_u32_e32 vcc, 0, v5
	v_cmp_ge_i32_e64 s[0:1], v59, v19
	s_or_b64 s[0:1], vcc, s[0:1]
	v_add_u32_e32 v0, 1, v59
	s_and_b64 s[0:1], exec, s[0:1]
	s_or_b64 s[46:47], s[0:1], s[46:47]
	v_mov_b32_e32 v59, v0
	s_andn2_b64 exec, exec, s[46:47]
	s_cbranch_execz .LBB13_55
.LBB13_11:                              ; =>This Loop Header: Depth=1
                                        ;     Child Loop BB13_14 Depth 2
                                        ;       Child Loop BB13_16 Depth 3
                                        ;     Child Loop BB13_37 Depth 2
                                        ;       Child Loop BB13_39 Depth 3
	v_add_u32_e32 v2, v59, v55
	v_ashrrev_i32_e32 v3, 31, v2
	v_cndmask_b32_e64 v0, 0, 1, s[42:43]
	v_lshl_add_u64 v[56:57], v[2:3], 2, s[40:41]
	v_cmp_ne_u32_e64 s[0:1], 1, v0
	s_andn2_b64 vcc, exec, s[42:43]
	v_mov_b32_e32 v5, 8
	s_cbranch_vccnz .LBB13_33
; %bb.12:                               ;   in Loop: Header=BB13_11 Depth=1
	global_load_dword v60, v[56:57], off
	v_mov_b32_e32 v2, v1
	v_mov_b32_e32 v3, v1
	;; [unrolled: 1-line block ×15, first 2 shown]
	v_mov_b64_e32 v[50:51], v[30:31]
	v_cmp_eq_u32_e32 vcc, v59, v19
	v_mov_b32_e32 v76, 0
	s_mov_b64 s[48:49], 0
	s_mov_b32 s45, 0
	v_mov_b64_e32 v[48:49], v[28:29]
	v_mov_b64_e32 v[46:47], v[26:27]
	;; [unrolled: 1-line block ×15, first 2 shown]
	s_waitcnt vmcnt(0)
	v_lshrrev_b32_e32 v61, 30, v60
	v_lshrrev_b32_e32 v62, 28, v60
	v_lshrrev_b32_e32 v63, 26, v60
	v_lshrrev_b32_e32 v64, 24, v60
	v_lshrrev_b32_e32 v65, 22, v60
	v_lshrrev_b32_e32 v66, 20, v60
	v_lshrrev_b32_e32 v67, 18, v60
	v_lshrrev_b32_e32 v68, 16, v60
	v_lshrrev_b32_e32 v69, 14, v60
	v_lshrrev_b32_e32 v70, 12, v60
	v_lshrrev_b32_e32 v71, 10, v60
	v_lshrrev_b32_e32 v72, 8, v60
	v_lshrrev_b32_e32 v73, 6, v60
	v_lshrrev_b32_e32 v74, 4, v60
	v_lshrrev_b32_e32 v75, 2, v60
	s_branch .LBB13_14
.LBB13_13:                              ;   in Loop: Header=BB13_14 Depth=2
	s_or_b64 exec, exec, s[6:7]
	s_and_b64 s[2:3], exec, s[4:5]
	s_or_b64 s[48:49], s[2:3], s[48:49]
	s_andn2_b64 exec, exec, s[48:49]
	s_cbranch_execz .LBB13_32
.LBB13_14:                              ;   Parent Loop BB13_11 Depth=1
                                        ; =>  This Loop Header: Depth=2
                                        ;       Child Loop BB13_16 Depth 3
	s_add_i32 s2, s45, s38
	s_ashr_i32 s3, s2, 31
	s_lshl_b64 s[2:3], s[2:3], 2
	s_add_u32 s2, s40, s2
	v_lshl_add_u32 v0, v76, 1, v58
	s_addc_u32 s3, s41, s3
	scratch_load_sshort v0, v0, off
	v_mov_b32_e32 v4, 30
	global_load_dword v2, v1, s[2:3]
	s_mov_b64 s[50:51], 0
	s_branch .LBB13_16
.LBB13_15:                              ;   in Loop: Header=BB13_16 Depth=3
	s_or_b64 exec, exec, s[6:7]
	s_and_b64 s[2:3], exec, s[2:3]
	s_or_b64 s[50:51], s[2:3], s[50:51]
	s_andn2_b64 exec, exec, s[50:51]
	s_cbranch_execz .LBB13_30
.LBB13_16:                              ;   Parent Loop BB13_11 Depth=1
                                        ;     Parent Loop BB13_14 Depth=2
                                        ; =>    This Inner Loop Header: Depth=3
	s_waitcnt vmcnt(0)
	v_bfe_u32 v3, v2, v4, 2
	v_cmp_eq_u32_e64 s[2:3], v61, v3
	v_lshrrev_b32_e32 v3, v4, v2
	v_bitop3_b32 v5, v62, 3, v3 bitop3:0x48
	v_cmp_eq_u32_e64 s[4:5], 0, v5
	v_bitop3_b32 v5, v63, 3, v3 bitop3:0x48
	v_cmp_eq_u32_e64 s[6:7], 0, v5
	v_bitop3_b32 v5, v64, 3, v3 bitop3:0x48
	v_cmp_eq_u32_e64 s[8:9], 0, v5
	v_bitop3_b32 v5, v65, 3, v3 bitop3:0x48
	v_cmp_eq_u32_e64 s[10:11], 0, v5
	v_bitop3_b32 v5, v66, 3, v3 bitop3:0x48
	v_cmp_eq_u32_e64 s[12:13], 0, v5
	v_bitop3_b32 v5, v67, 3, v3 bitop3:0x48
	v_cmp_eq_u32_e64 s[14:15], 0, v5
	v_bitop3_b32 v5, v68, 3, v3 bitop3:0x48
	v_cmp_eq_u32_e64 s[16:17], 0, v5
	v_bitop3_b32 v5, v69, 3, v3 bitop3:0x48
	v_cmp_eq_u32_e64 s[18:19], 0, v5
	v_bitop3_b32 v5, v70, 3, v3 bitop3:0x48
	v_cmp_eq_u32_e64 s[20:21], 0, v5
	v_bitop3_b32 v5, v71, 3, v3 bitop3:0x48
	v_cmp_eq_u32_e64 s[22:23], 0, v5
	v_bitop3_b32 v5, v72, 3, v3 bitop3:0x48
	v_cmp_eq_u32_e64 s[24:25], 0, v5
	v_bitop3_b32 v5, v73, 3, v3 bitop3:0x48
	v_cmp_eq_u32_e64 s[26:27], 0, v5
	v_bitop3_b32 v5, v74, 3, v3 bitop3:0x48
	v_cmp_eq_u32_e64 s[28:29], 0, v5
	v_bitop3_b32 v5, v75, 3, v3 bitop3:0x48
	v_bitop3_b32 v3, v60, 3, v3 bitop3:0x48
	v_cmp_eq_u32_e64 s[34:35], 0, v3
	v_add_u32_e32 v3, 1, v76
	v_cmp_ne_u32_e64 s[36:37], s33, v3
	v_lshlrev_b32_e32 v3, 1, v76
	v_add_u32_e32 v44, 0x1780, v3
	v_cmp_eq_u32_e64 s[30:31], 0, v5
	v_add_u32_e32 v5, 2, v44
	scratch_load_sshort v42, v5, off
	v_add_u32_e32 v38, 16, v3
	v_addc_co_u32_e64 v3, s[2:3], 0, v0, s[2:3]
                                        ; implicit-def: $vgpr6
                                        ; implicit-def: $vgpr5
	s_waitcnt vmcnt(0)
	v_max3_i32 v41, v3, v42, v21
	v_addc_co_u32_e64 v3, s[2:3], 0, v21, s[4:5]
	v_max3_i32 v40, v3, v41, v22
	v_addc_co_u32_e64 v3, s[2:3], 0, v22, s[6:7]
	v_max3_i32 v39, v3, v40, v23
	v_addc_co_u32_e64 v3, s[2:3], 0, v23, s[8:9]
	v_max3_i32 v37, v3, v39, v24
	v_addc_co_u32_e64 v3, s[2:3], 0, v24, s[10:11]
	v_max3_i32 v20, v3, v37, v25
	v_addc_co_u32_e64 v3, s[2:3], 0, v25, s[12:13]
	v_max3_i32 v16, v3, v20, v26
	v_addc_co_u32_e64 v3, s[2:3], 0, v26, s[14:15]
	v_max3_i32 v15, v3, v16, v27
	v_addc_co_u32_e64 v3, s[2:3], 0, v27, s[16:17]
	v_max3_i32 v14, v3, v15, v28
	v_addc_co_u32_e64 v3, s[2:3], 0, v28, s[18:19]
	v_max3_i32 v13, v3, v14, v29
	v_addc_co_u32_e64 v3, s[2:3], 0, v29, s[20:21]
	v_max3_i32 v12, v3, v13, v30
	v_addc_co_u32_e64 v3, s[2:3], 0, v30, s[22:23]
	v_max3_i32 v11, v3, v12, v31
	v_addc_co_u32_e64 v3, s[2:3], 0, v31, s[24:25]
	v_max3_i32 v10, v3, v11, v32
	v_addc_co_u32_e64 v3, s[2:3], 0, v32, s[26:27]
	v_max3_i32 v9, v3, v10, v33
	v_addc_co_u32_e64 v3, s[2:3], 0, v33, s[28:29]
	v_max3_i32 v8, v3, v9, v34
	v_addc_co_u32_e64 v3, s[2:3], 0, v34, s[30:31]
	v_max3_i32 v7, v3, v8, v35
	v_addc_co_u32_e64 v3, s[2:3], 0, v35, s[34:35]
	v_max3_i32 v43, v3, v7, v36
	v_add_u32_e32 v3, 2, v38
	s_mov_b64 s[8:9], 0
	scratch_store_short v3, v43, off
                                        ; implicit-def: $sgpr4_sgpr5
                                        ; implicit-def: $vgpr3
	s_and_saveexec_b64 s[2:3], s[36:37]
	s_xor_b64 s[6:7], exec, s[2:3]
	s_cbranch_execz .LBB13_26
; %bb.17:                               ;   in Loop: Header=BB13_16 Depth=3
	v_add_u32_e32 v0, 4, v44
	scratch_load_sshort v0, v0, off
	v_add_u32_e32 v3, -2, v4
	v_bfe_u32 v5, v2, v3, 2
	v_lshrrev_b32_e32 v4, v3, v2
	v_cmp_eq_u32_e64 s[2:3], v61, v5
	v_bitop3_b32 v6, v62, 3, v4 bitop3:0x48
	v_add_u32_e32 v76, 2, v76
	v_addc_co_u32_e64 v5, s[2:3], 0, v42, s[2:3]
	v_cmp_eq_u32_e64 s[2:3], 0, v6
	s_mov_b64 s[10:11], 0
	s_mov_b64 s[4:5], -1
	v_addc_co_u32_e64 v6, s[2:3], 0, v41, s[2:3]
	s_waitcnt vmcnt(0)
	v_max3_i32 v21, v5, v0, v41
	v_bitop3_b32 v5, v63, 3, v4 bitop3:0x48
	v_cmp_eq_u32_e64 s[2:3], 0, v5
	v_max3_i32 v22, v6, v21, v40
                                        ; implicit-def: $vgpr6
	s_nop 0
	v_addc_co_u32_e64 v5, s[2:3], 0, v40, s[2:3]
	v_max3_i32 v23, v5, v22, v39
	v_bitop3_b32 v5, v64, 3, v4 bitop3:0x48
	v_cmp_eq_u32_e64 s[2:3], 0, v5
	s_nop 1
	v_addc_co_u32_e64 v5, s[2:3], 0, v39, s[2:3]
	v_max3_i32 v24, v5, v23, v37
	v_bitop3_b32 v5, v65, 3, v4 bitop3:0x48
	v_cmp_eq_u32_e64 s[2:3], 0, v5
	;; [unrolled: 5-line block ×12, first 2 shown]
	v_bitop3_b32 v4, v60, 3, v4 bitop3:0x48
	s_nop 0
	v_addc_co_u32_e64 v5, s[2:3], 0, v8, s[2:3]
	v_cmp_eq_u32_e64 s[2:3], 0, v4
	v_max3_i32 v35, v5, v34, v7
	v_mov_b32_e32 v5, 0
	v_addc_co_u32_e64 v4, s[2:3], 0, v7, s[2:3]
	v_max3_i32 v36, v4, v35, v43
	v_add_u32_e32 v4, 4, v38
	v_cmp_eq_u32_e64 s[2:3], s33, v76
	scratch_store_short v4, v36, off
	s_and_saveexec_b64 s[8:9], s[2:3]
	s_cbranch_execz .LBB13_21
; %bb.18:                               ;   in Loop: Header=BB13_16 Depth=3
                                        ; implicit-def: $vgpr6
	s_and_saveexec_b64 s[2:3], vcc
	s_xor_b64 s[4:5], exec, s[2:3]
	s_cbranch_execz .LBB13_20
; %bb.19:                               ;   in Loop: Header=BB13_16 Depth=3
	v_cmp_eq_u32_e64 s[2:3], 1, v54
	s_mov_b64 s[10:11], exec
	s_nop 0
	v_cndmask_b32_e64 v4, v0, v21, s[2:3]
	v_cmp_eq_u32_e64 s[2:3], 2, v54
	s_nop 1
	v_cndmask_b32_e64 v4, v4, v22, s[2:3]
	v_cmp_eq_u32_e64 s[2:3], 3, v54
	;; [unrolled: 3-line block ×15, first 2 shown]
	s_nop 1
	v_cndmask_b32_e64 v6, v4, v36, s[2:3]
.LBB13_20:                              ;   in Loop: Header=BB13_16 Depth=3
	s_or_b64 exec, exec, s[4:5]
	v_mov_b32_e32 v5, 11
	v_mov_b32_e32 v76, s33
	s_xor_b64 s[4:5], exec, -1
	s_and_b64 s[10:11], s[10:11], exec
.LBB13_21:                              ;   in Loop: Header=BB13_16 Depth=3
	s_or_b64 exec, exec, s[8:9]
	s_and_b64 s[8:9], s[10:11], exec
                                        ; implicit-def: $vgpr4
                                        ; implicit-def: $vgpr42
                                        ; implicit-def: $vgpr41
                                        ; implicit-def: $vgpr40
                                        ; implicit-def: $vgpr39
                                        ; implicit-def: $vgpr37
                                        ; implicit-def: $vgpr20
                                        ; implicit-def: $vgpr16
                                        ; implicit-def: $vgpr15
                                        ; implicit-def: $vgpr14
                                        ; implicit-def: $vgpr13
                                        ; implicit-def: $vgpr12
                                        ; implicit-def: $vgpr11
                                        ; implicit-def: $vgpr10
                                        ; implicit-def: $vgpr9
                                        ; implicit-def: $vgpr8
                                        ; implicit-def: $vgpr7
	s_andn2_saveexec_b64 s[6:7], s[6:7]
	s_cbranch_execnz .LBB13_27
.LBB13_22:                              ;   in Loop: Header=BB13_16 Depth=3
	s_or_b64 exec, exec, s[6:7]
	s_and_saveexec_b64 s[6:7], s[8:9]
	s_cbranch_execz .LBB13_24
.LBB13_23:                              ;   in Loop: Header=BB13_16 Depth=3
	v_mov_b32_e32 v4, s44
	v_cmp_ge_i32_e64 s[2:3], v6, v17
	v_mov_b32_e32 v5, 1
	v_mov_b32_e32 v76, s33
	v_cndmask_b32_e64 v4, -1, v4, s[2:3]
	s_andn2_b64 s[4:5], s[4:5], exec
	global_store_dword v[52:53], v4, off
.LBB13_24:                              ;   in Loop: Header=BB13_16 Depth=3
	s_or_b64 exec, exec, s[6:7]
	s_mov_b64 s[2:3], -1
                                        ; implicit-def: $vgpr4
	s_and_saveexec_b64 s[6:7], s[4:5]
	s_cbranch_execz .LBB13_15
; %bb.25:                               ;   in Loop: Header=BB13_16 Depth=3
	v_cmp_gt_i32_e64 s[2:3], 2, v3
	v_add_u32_e32 v4, -2, v3
	v_mov_b32_e32 v5, 11
	s_orn2_b64 s[2:3], s[2:3], exec
	s_branch .LBB13_15
.LBB13_26:                              ;   in Loop: Header=BB13_16 Depth=3
	s_andn2_saveexec_b64 s[6:7], s[6:7]
	s_cbranch_execz .LBB13_22
.LBB13_27:                              ;   in Loop: Header=BB13_16 Depth=3
	s_mov_b64 s[2:3], s[8:9]
                                        ; implicit-def: $vgpr6
	s_and_saveexec_b64 s[10:11], vcc
	s_cbranch_execz .LBB13_29
; %bb.28:                               ;   in Loop: Header=BB13_16 Depth=3
	v_cmp_eq_u32_e64 s[2:3], 1, v54
	s_nop 1
	v_cndmask_b32_e64 v3, v42, v41, s[2:3]
	v_cmp_eq_u32_e64 s[2:3], 2, v54
	s_nop 1
	v_cndmask_b32_e64 v3, v3, v40, s[2:3]
	;; [unrolled: 3-line block ×16, first 2 shown]
	s_or_b64 s[2:3], s[8:9], exec
.LBB13_29:                              ;   in Loop: Header=BB13_16 Depth=3
	s_or_b64 exec, exec, s[10:11]
	s_andn2_b64 s[8:9], s[8:9], exec
	s_and_b64 s[2:3], s[2:3], exec
	v_mov_b32_e32 v5, 11
	v_mov_b32_e32 v76, s33
	s_andn2_b64 s[4:5], s[4:5], exec
	s_or_b64 s[8:9], s[8:9], s[2:3]
	v_mov_b32_e32 v3, v4
	s_or_b64 exec, exec, s[6:7]
	s_and_saveexec_b64 s[6:7], s[8:9]
	s_cbranch_execz .LBB13_24
	s_branch .LBB13_23
.LBB13_30:                              ;   in Loop: Header=BB13_14 Depth=2
	s_or_b64 exec, exec, s[50:51]
	v_cmp_eq_u32_e64 s[2:3], 11, v5
	s_mov_b64 s[4:5], -1
	s_and_saveexec_b64 s[6:7], s[2:3]
	s_cbranch_execz .LBB13_13
; %bb.31:                               ;   in Loop: Header=BB13_14 Depth=2
	s_add_i32 s8, s45, 1
	s_cmp_eq_u32 s45, s39
	s_cselect_b64 s[2:3], -1, 0
	v_mov_b32_e32 v5, 8
	s_orn2_b64 s[4:5], s[2:3], exec
	s_mov_b32 s45, s8
	s_branch .LBB13_13
.LBB13_32:                              ;   in Loop: Header=BB13_11 Depth=1
	s_or_b64 exec, exec, s[48:49]
.LBB13_33:                              ;   in Loop: Header=BB13_11 Depth=1
	v_cmp_eq_u32_e32 vcc, 8, v5
	s_and_saveexec_b64 s[10:11], vcc
	s_cbranch_execz .LBB13_10
; %bb.34:                               ;   in Loop: Header=BB13_11 Depth=1
	v_add_u32_e32 v59, 1, v59
	s_and_b64 vcc, exec, s[0:1]
	v_mov_b32_e32 v11, 23
	s_cbranch_vccnz .LBB13_9
; %bb.35:                               ;   in Loop: Header=BB13_11 Depth=1
	global_load_dword v56, v[56:57], off offset:4
	v_mov_b32_e32 v0, v1
	v_mov_b32_e32 v2, v1
	v_mov_b32_e32 v3, v1
	v_mov_b32_e32 v4, v1
	v_mov_b32_e32 v5, v1
	v_mov_b32_e32 v6, v1
	v_mov_b32_e32 v7, v1
	v_mov_b32_e32 v8, v1
	v_mov_b32_e32 v9, v1
	v_mov_b32_e32 v10, v1
	v_mov_b32_e32 v11, v1
	v_mov_b32_e32 v12, v1
	v_mov_b32_e32 v13, v1
	v_mov_b32_e32 v14, v1
	v_mov_b32_e32 v15, v1
	v_mov_b32_e32 v16, v1
	v_mov_b64_e32 v[50:51], v[30:31]
	v_cmp_eq_u32_e32 vcc, v59, v19
	v_mov_b32_e32 v74, 0
	s_mov_b64 s[12:13], 0
	s_mov_b32 s22, 0
	v_mov_b64_e32 v[48:49], v[28:29]
	v_mov_b64_e32 v[46:47], v[26:27]
	;; [unrolled: 1-line block ×15, first 2 shown]
	s_waitcnt vmcnt(0)
	v_lshrrev_b32_e32 v57, 30, v56
	v_lshrrev_b32_e32 v60, 28, v56
	;; [unrolled: 1-line block ×15, first 2 shown]
	s_branch .LBB13_37
.LBB13_36:                              ;   in Loop: Header=BB13_37 Depth=2
	s_or_b64 exec, exec, s[4:5]
	s_and_b64 s[0:1], exec, s[2:3]
	s_or_b64 s[12:13], s[0:1], s[12:13]
	s_andn2_b64 exec, exec, s[12:13]
	s_cbranch_execz .LBB13_8
.LBB13_37:                              ;   Parent Loop BB13_11 Depth=1
                                        ; =>  This Loop Header: Depth=2
                                        ;       Child Loop BB13_39 Depth 3
	s_add_i32 s0, s22, s38
	s_ashr_i32 s1, s0, 31
	s_lshl_b64 s[0:1], s[0:1], 2
	s_add_u32 s0, s40, s0
	s_addc_u32 s1, s41, s1
	global_load_dword v0, v1, s[0:1]
	v_mov_b32_e32 v3, 30
	s_mov_b64 s[14:15], 0
	s_branch .LBB13_39
.LBB13_38:                              ;   in Loop: Header=BB13_39 Depth=3
	s_or_b64 exec, exec, s[2:3]
	s_and_b64 s[0:1], exec, s[0:1]
	s_or_b64 s[14:15], s[0:1], s[14:15]
	s_andn2_b64 exec, exec, s[14:15]
	s_cbranch_execz .LBB13_53
.LBB13_39:                              ;   Parent Loop BB13_11 Depth=1
                                        ;     Parent Loop BB13_37 Depth=2
                                        ; =>    This Inner Loop Header: Depth=3
	v_lshlrev_b32_e32 v2, 1, v74
	v_add_u32_e32 v44, 16, v2
	v_add_u32_e32 v4, 2, v44
	scratch_load_sshort v4, v4, off
	s_waitcnt vmcnt(1)
	v_lshrrev_b32_e32 v5, v3, v0
	v_bitop3_b32 v8, v60, 3, v5 bitop3:0x48
	v_bfe_u32 v7, v0, v3, 2
	v_cmp_eq_u32_e64 s[2:3], 0, v8
	v_cmp_eq_u32_e64 s[0:1], v57, v7
	v_bitop3_b32 v9, v61, 3, v5 bitop3:0x48
	v_add_u32_e32 v43, 0x1780, v2
	v_addc_co_u32_e64 v2, s[2:3], 0, v21, s[2:3]
	v_add_u32_e32 v6, 1, v74
	v_addc_co_u32_e64 v7, s[0:1], 0, v20, s[0:1]
	v_cmp_eq_u32_e64 s[2:3], 0, v9
	v_bitop3_b32 v10, v62, 3, v5 bitop3:0x48
	v_cmp_ne_u32_e64 s[0:1], s33, v6
	v_addc_co_u32_e64 v6, s[2:3], 0, v22, s[2:3]
	v_cmp_eq_u32_e64 s[2:3], 0, v10
	v_bitop3_b32 v11, v63, 3, v5 bitop3:0x48
	v_bitop3_b32 v12, v64, 3, v5 bitop3:0x48
	v_addc_co_u32_e64 v8, s[2:3], 0, v23, s[2:3]
	v_cmp_eq_u32_e64 s[2:3], 0, v11
	v_bitop3_b32 v13, v65, 3, v5 bitop3:0x48
	v_bitop3_b32 v14, v66, 3, v5 bitop3:0x48
	v_addc_co_u32_e64 v9, s[2:3], 0, v24, s[2:3]
	v_cmp_eq_u32_e64 s[2:3], 0, v12
	v_bitop3_b32 v15, v67, 3, v5 bitop3:0x48
	v_bitop3_b32 v16, v68, 3, v5 bitop3:0x48
	v_addc_co_u32_e64 v10, s[2:3], 0, v25, s[2:3]
	v_cmp_eq_u32_e64 s[2:3], 0, v13
	v_bitop3_b32 v37, v69, 3, v5 bitop3:0x48
	v_bitop3_b32 v38, v70, 3, v5 bitop3:0x48
	v_addc_co_u32_e64 v11, s[2:3], 0, v26, s[2:3]
	v_cmp_eq_u32_e64 s[2:3], 0, v14
	v_bitop3_b32 v39, v71, 3, v5 bitop3:0x48
	v_bitop3_b32 v40, v72, 3, v5 bitop3:0x48
	v_addc_co_u32_e64 v12, s[2:3], 0, v27, s[2:3]
	v_cmp_eq_u32_e64 s[2:3], 0, v15
	v_bitop3_b32 v41, v73, 3, v5 bitop3:0x48
	v_bitop3_b32 v5, v56, 3, v5 bitop3:0x48
	v_addc_co_u32_e64 v42, s[2:3], 0, v28, s[2:3]
	v_cmp_eq_u32_e64 s[2:3], 0, v16
	v_add_u32_e32 v51, 2, v43
                                        ; implicit-def: $sgpr16_sgpr17
	s_nop 0
	v_addc_co_u32_e64 v45, s[2:3], 0, v29, s[2:3]
	v_cmp_eq_u32_e64 s[2:3], 0, v37
	s_nop 1
	v_addc_co_u32_e64 v46, s[2:3], 0, v30, s[2:3]
	v_cmp_eq_u32_e64 s[2:3], 0, v38
	;; [unrolled: 3-line block ×4, first 2 shown]
	s_waitcnt vmcnt(0)
	v_max3_i32 v40, v7, v4, v21
	v_max3_i32 v39, v2, v40, v22
	;; [unrolled: 1-line block ×10, first 2 shown]
	v_addc_co_u32_e64 v49, s[2:3], 0, v33, s[2:3]
	v_max3_i32 v9, v46, v10, v31
	v_cmp_eq_u32_e64 s[2:3], 0, v41
	v_max3_i32 v8, v47, v9, v32
	v_max3_i32 v7, v48, v8, v33
	v_addc_co_u32_e64 v41, s[2:3], 0, v34, s[2:3]
	v_cmp_eq_u32_e64 s[2:3], 0, v5
	v_max3_i32 v6, v49, v7, v34
	v_max3_i32 v5, v41, v6, v35
	v_addc_co_u32_e64 v50, s[2:3], 0, v35, s[2:3]
	v_max3_i32 v42, v50, v5, v36
	s_mov_b64 s[2:3], 0
	scratch_store_short v51, v42, off
                                        ; implicit-def: $vgpr2
                                        ; implicit-def: $vgpr41
                                        ; implicit-def: $vgpr11
	s_and_saveexec_b64 s[4:5], s[0:1]
	s_xor_b64 s[18:19], exec, s[4:5]
	s_cbranch_execz .LBB13_49
; %bb.40:                               ;   in Loop: Header=BB13_39 Depth=3
	v_add_u32_e32 v2, 4, v44
	scratch_load_sshort v20, v2, off
	v_add_u32_e32 v2, -2, v3
	v_bfe_u32 v21, v0, v2, 2
	v_lshrrev_b32_e32 v11, v2, v0
	v_cmp_eq_u32_e64 s[2:3], v57, v21
	v_bitop3_b32 v21, v60, 3, v11 bitop3:0x48
	v_bitop3_b32 v22, v61, 3, v11 bitop3:0x48
	v_addc_co_u32_e64 v4, s[2:3], 0, v4, s[2:3]
	v_bitop3_b32 v23, v62, 3, v11 bitop3:0x48
	v_bitop3_b32 v24, v63, 3, v11 bitop3:0x48
	v_cmp_eq_u32_e64 s[2:3], 0, v21
	v_cmp_eq_u32_e64 s[4:5], 0, v22
	;; [unrolled: 1-line block ×4, first 2 shown]
	v_bitop3_b32 v25, v64, 3, v11 bitop3:0x48
	v_addc_co_u32_e64 v22, s[2:3], 0, v40, s[2:3]
	v_addc_co_u32_e64 v23, s[2:3], 0, v39, s[4:5]
	v_addc_co_u32_e64 v24, s[2:3], 0, v38, s[6:7]
	v_addc_co_u32_e64 v34, s[2:3], 0, v37, s[8:9]
	v_cmp_eq_u32_e64 s[2:3], 0, v25
	v_bitop3_b32 v26, v65, 3, v11 bitop3:0x48
	v_bitop3_b32 v27, v66, 3, v11 bitop3:0x48
	v_addc_co_u32_e64 v35, s[2:3], 0, v16, s[2:3]
	v_cmp_eq_u32_e64 s[2:3], 0, v26
	v_bitop3_b32 v28, v67, 3, v11 bitop3:0x48
	v_bitop3_b32 v29, v68, 3, v11 bitop3:0x48
	v_addc_co_u32_e64 v36, s[2:3], 0, v15, s[2:3]
	v_cmp_eq_u32_e64 s[2:3], 0, v27
	v_bitop3_b32 v30, v69, 3, v11 bitop3:0x48
	v_bitop3_b32 v31, v71, 3, v11 bitop3:0x48
	;; [unrolled: 1-line block ×3, first 2 shown]
	v_add_u32_e32 v3, 4, v43
	v_bitop3_b32 v33, v73, 3, v11 bitop3:0x48
	v_add_u32_e32 v74, 2, v74
	s_mov_b64 s[20:21], 0
	s_mov_b64 s[16:17], -1
	v_cmp_eq_u32_e64 s[0:1], s33, v74
	s_waitcnt vmcnt(0)
	v_max3_i32 v21, v4, v20, v40
	v_max3_i32 v22, v22, v21, v39
	;; [unrolled: 1-line block ×4, first 2 shown]
	v_addc_co_u32_e64 v37, s[2:3], 0, v14, s[2:3]
	v_cmp_eq_u32_e64 s[2:3], 0, v28
	v_bitop3_b32 v4, v70, 3, v11 bitop3:0x48
	v_max3_i32 v25, v34, v24, v16
	v_addc_co_u32_e64 v38, s[2:3], 0, v13, s[2:3]
	v_cmp_eq_u32_e64 s[2:3], 0, v29
	v_max3_i32 v26, v35, v25, v15
	v_max3_i32 v27, v36, v26, v14
	v_addc_co_u32_e64 v39, s[2:3], 0, v12, s[2:3]
	v_cmp_eq_u32_e64 s[2:3], 0, v30
	v_max3_i32 v28, v37, v27, v13
	;; [unrolled: 4-line block ×3, first 2 shown]
	v_bitop3_b32 v11, v56, 3, v11 bitop3:0x48
	v_addc_co_u32_e64 v4, s[2:3], 0, v9, s[2:3]
	v_cmp_eq_u32_e64 s[2:3], 0, v31
	v_max3_i32 v31, v40, v30, v9
	s_nop 0
	v_addc_co_u32_e64 v41, s[2:3], 0, v8, s[2:3]
	v_cmp_eq_u32_e64 s[2:3], 0, v32
	v_max3_i32 v32, v4, v31, v8
	s_nop 0
	v_addc_co_u32_e64 v43, s[2:3], 0, v7, s[2:3]
	v_cmp_eq_u32_e64 s[2:3], 0, v33
	v_max3_i32 v33, v41, v32, v7
	v_max3_i32 v34, v43, v33, v6
	v_addc_co_u32_e64 v44, s[2:3], 0, v6, s[2:3]
	v_cmp_eq_u32_e64 s[2:3], 0, v11
	v_max3_i32 v35, v44, v34, v5
                                        ; implicit-def: $vgpr41
	s_nop 0
	v_addc_co_u32_e64 v11, s[2:3], 0, v5, s[2:3]
	v_max3_i32 v36, v11, v35, v42
	v_mov_b32_e32 v11, 0
	scratch_store_short v3, v36, off
	s_and_saveexec_b64 s[2:3], s[0:1]
	s_cbranch_execz .LBB13_44
; %bb.41:                               ;   in Loop: Header=BB13_39 Depth=3
	s_mov_b64 s[4:5], 0
                                        ; implicit-def: $vgpr41
	s_and_saveexec_b64 s[0:1], vcc
	s_xor_b64 s[6:7], exec, s[0:1]
	s_cbranch_execz .LBB13_43
; %bb.42:                               ;   in Loop: Header=BB13_39 Depth=3
	v_cmp_eq_u32_e64 s[0:1], 1, v54
	s_mov_b64 s[4:5], exec
	s_nop 0
	v_cndmask_b32_e64 v3, v20, v21, s[0:1]
	v_cmp_eq_u32_e64 s[0:1], 2, v54
	s_nop 1
	v_cndmask_b32_e64 v3, v3, v22, s[0:1]
	v_cmp_eq_u32_e64 s[0:1], 3, v54
	s_nop 1
	v_cndmask_b32_e64 v3, v3, v23, s[0:1]
	v_cmp_eq_u32_e64 s[0:1], 4, v54
	s_nop 1
	v_cndmask_b32_e64 v3, v3, v24, s[0:1]
	v_cmp_eq_u32_e64 s[0:1], 5, v54
	s_nop 1
	v_cndmask_b32_e64 v3, v3, v25, s[0:1]
	v_cmp_eq_u32_e64 s[0:1], 6, v54
	s_nop 1
	v_cndmask_b32_e64 v3, v3, v26, s[0:1]
	v_cmp_eq_u32_e64 s[0:1], 7, v54
	s_nop 1
	v_cndmask_b32_e64 v3, v3, v27, s[0:1]
	v_cmp_eq_u32_e64 s[0:1], 8, v54
	s_nop 1
	v_cndmask_b32_e64 v3, v3, v28, s[0:1]
	v_cmp_eq_u32_e64 s[0:1], 9, v54
	s_nop 1
	v_cndmask_b32_e64 v3, v3, v29, s[0:1]
	v_cmp_eq_u32_e64 s[0:1], 10, v54
	s_nop 1
	v_cndmask_b32_e64 v3, v3, v30, s[0:1]
	v_cmp_eq_u32_e64 s[0:1], 11, v54
	s_nop 1
	v_cndmask_b32_e64 v3, v3, v31, s[0:1]
	v_cmp_eq_u32_e64 s[0:1], 12, v54
	s_nop 1
	v_cndmask_b32_e64 v3, v3, v32, s[0:1]
	v_cmp_eq_u32_e64 s[0:1], 13, v54
	s_nop 1
	v_cndmask_b32_e64 v3, v3, v33, s[0:1]
	v_cmp_eq_u32_e64 s[0:1], 14, v54
	s_nop 1
	v_cndmask_b32_e64 v3, v3, v34, s[0:1]
	v_cmp_eq_u32_e64 s[0:1], 15, v54
	s_nop 1
	v_cndmask_b32_e64 v3, v3, v35, s[0:1]
	v_cmp_eq_u32_e64 s[0:1], 16, v54
	s_nop 1
	v_cndmask_b32_e64 v41, v3, v36, s[0:1]
.LBB13_43:                              ;   in Loop: Header=BB13_39 Depth=3
	s_or_b64 exec, exec, s[6:7]
	v_mov_b32_e32 v11, 26
	v_mov_b32_e32 v74, s33
	s_xor_b64 s[16:17], exec, -1
	s_and_b64 s[20:21], s[4:5], exec
.LBB13_44:                              ;   in Loop: Header=BB13_39 Depth=3
	s_or_b64 exec, exec, s[2:3]
	s_and_b64 s[2:3], s[20:21], exec
                                        ; implicit-def: $vgpr3
                                        ; implicit-def: $vgpr4
                                        ; implicit-def: $vgpr40
                                        ; implicit-def: $vgpr39
                                        ; implicit-def: $vgpr38
                                        ; implicit-def: $vgpr37
                                        ; implicit-def: $vgpr16
                                        ; implicit-def: $vgpr15
                                        ; implicit-def: $vgpr14
                                        ; implicit-def: $vgpr13
                                        ; implicit-def: $vgpr12
                                        ; implicit-def: $vgpr10
                                        ; implicit-def: $vgpr9
                                        ; implicit-def: $vgpr8
                                        ; implicit-def: $vgpr7
                                        ; implicit-def: $vgpr6
                                        ; implicit-def: $vgpr5
	s_andn2_saveexec_b64 s[4:5], s[18:19]
	s_cbranch_execnz .LBB13_50
.LBB13_45:                              ;   in Loop: Header=BB13_39 Depth=3
	s_or_b64 exec, exec, s[4:5]
	s_and_saveexec_b64 s[4:5], s[2:3]
	s_cbranch_execz .LBB13_47
.LBB13_46:                              ;   in Loop: Header=BB13_39 Depth=3
	v_mov_b32_e32 v3, s44
	v_cmp_ge_i32_e64 s[0:1], v41, v17
	v_mov_b32_e32 v11, 1
	v_mov_b32_e32 v74, s33
	v_cndmask_b32_e64 v3, -1, v3, s[0:1]
	s_andn2_b64 s[16:17], s[16:17], exec
	global_store_dword v[52:53], v3, off
.LBB13_47:                              ;   in Loop: Header=BB13_39 Depth=3
	s_or_b64 exec, exec, s[4:5]
	s_mov_b64 s[0:1], -1
                                        ; implicit-def: $vgpr3
	s_and_saveexec_b64 s[2:3], s[16:17]
	s_cbranch_execz .LBB13_38
; %bb.48:                               ;   in Loop: Header=BB13_39 Depth=3
	v_cmp_gt_i32_e64 s[0:1], 2, v2
	v_add_u32_e32 v3, -2, v2
	v_mov_b32_e32 v11, 26
	s_orn2_b64 s[0:1], s[0:1], exec
	s_branch .LBB13_38
.LBB13_49:                              ;   in Loop: Header=BB13_39 Depth=3
	s_andn2_saveexec_b64 s[4:5], s[18:19]
	s_cbranch_execz .LBB13_45
.LBB13_50:                              ;   in Loop: Header=BB13_39 Depth=3
	s_mov_b64 s[0:1], s[2:3]
                                        ; implicit-def: $vgpr41
	s_and_saveexec_b64 s[6:7], vcc
	s_cbranch_execz .LBB13_52
; %bb.51:                               ;   in Loop: Header=BB13_39 Depth=3
	v_cmp_eq_u32_e64 s[0:1], 1, v54
	s_nop 1
	v_cndmask_b32_e64 v2, v4, v40, s[0:1]
	v_cmp_eq_u32_e64 s[0:1], 2, v54
	s_nop 1
	v_cndmask_b32_e64 v2, v2, v39, s[0:1]
	;; [unrolled: 3-line block ×16, first 2 shown]
	s_or_b64 s[0:1], s[2:3], exec
.LBB13_52:                              ;   in Loop: Header=BB13_39 Depth=3
	s_or_b64 exec, exec, s[6:7]
	s_andn2_b64 s[2:3], s[2:3], exec
	s_and_b64 s[0:1], s[0:1], exec
	v_mov_b32_e32 v11, 26
	v_mov_b32_e32 v74, s33
	s_andn2_b64 s[16:17], s[16:17], exec
	s_or_b64 s[2:3], s[2:3], s[0:1]
	v_mov_b32_e32 v2, v3
	s_or_b64 exec, exec, s[4:5]
	s_and_saveexec_b64 s[4:5], s[2:3]
	s_cbranch_execz .LBB13_47
	s_branch .LBB13_46
.LBB13_53:                              ;   in Loop: Header=BB13_37 Depth=2
	s_or_b64 exec, exec, s[14:15]
	v_cmp_eq_u32_e64 s[0:1], 26, v11
	s_mov_b64 s[2:3], -1
	s_and_saveexec_b64 s[4:5], s[0:1]
	s_cbranch_execz .LBB13_36
; %bb.54:                               ;   in Loop: Header=BB13_37 Depth=2
	s_add_i32 s6, s22, 1
	s_cmp_eq_u32 s22, s39
	s_cselect_b64 s[0:1], -1, 0
	v_mov_b32_e32 v11, 23
	s_orn2_b64 s[2:3], s[0:1], exec
	s_mov_b32 s22, s6
	s_branch .LBB13_36
.LBB13_55:
	s_endpgm
	.section	.rodata,"a",@progbits
	.p2align	6, 0x0
	.amdhsa_kernel _Z12kernel_alignfPKiPKlPKjS0_iPii
		.amdhsa_group_segment_fixed_size 0
		.amdhsa_private_segment_fixed_size 12016
		.amdhsa_kernarg_size 320
		.amdhsa_user_sgpr_count 2
		.amdhsa_user_sgpr_dispatch_ptr 0
		.amdhsa_user_sgpr_queue_ptr 0
		.amdhsa_user_sgpr_kernarg_segment_ptr 1
		.amdhsa_user_sgpr_dispatch_id 0
		.amdhsa_user_sgpr_kernarg_preload_length 0
		.amdhsa_user_sgpr_kernarg_preload_offset 0
		.amdhsa_user_sgpr_private_segment_size 0
		.amdhsa_uses_dynamic_stack 0
		.amdhsa_enable_private_segment 1
		.amdhsa_system_sgpr_workgroup_id_x 1
		.amdhsa_system_sgpr_workgroup_id_y 0
		.amdhsa_system_sgpr_workgroup_id_z 0
		.amdhsa_system_sgpr_workgroup_info 0
		.amdhsa_system_vgpr_workitem_id 0
		.amdhsa_next_free_vgpr 77
		.amdhsa_next_free_sgpr 52
		.amdhsa_accum_offset 80
		.amdhsa_reserve_vcc 1
		.amdhsa_float_round_mode_32 0
		.amdhsa_float_round_mode_16_64 0
		.amdhsa_float_denorm_mode_32 3
		.amdhsa_float_denorm_mode_16_64 3
		.amdhsa_dx10_clamp 1
		.amdhsa_ieee_mode 1
		.amdhsa_fp16_overflow 0
		.amdhsa_tg_split 0
		.amdhsa_exception_fp_ieee_invalid_op 0
		.amdhsa_exception_fp_denorm_src 0
		.amdhsa_exception_fp_ieee_div_zero 0
		.amdhsa_exception_fp_ieee_overflow 0
		.amdhsa_exception_fp_ieee_underflow 0
		.amdhsa_exception_fp_ieee_inexact 0
		.amdhsa_exception_int_div_zero 0
	.end_amdhsa_kernel
	.text
.Lfunc_end13:
	.size	_Z12kernel_alignfPKiPKlPKjS0_iPii, .Lfunc_end13-_Z12kernel_alignfPKiPKlPKjS0_iPii
                                        ; -- End function
	.set _Z12kernel_alignfPKiPKlPKjS0_iPii.num_vgpr, 77
	.set _Z12kernel_alignfPKiPKlPKjS0_iPii.num_agpr, 0
	.set _Z12kernel_alignfPKiPKlPKjS0_iPii.numbered_sgpr, 52
	.set _Z12kernel_alignfPKiPKlPKjS0_iPii.num_named_barrier, 0
	.set _Z12kernel_alignfPKiPKlPKjS0_iPii.private_seg_size, 12016
	.set _Z12kernel_alignfPKiPKlPKjS0_iPii.uses_vcc, 1
	.set _Z12kernel_alignfPKiPKlPKjS0_iPii.uses_flat_scratch, 0
	.set _Z12kernel_alignfPKiPKlPKjS0_iPii.has_dyn_sized_stack, 0
	.set _Z12kernel_alignfPKiPKlPKjS0_iPii.has_recursion, 0
	.set _Z12kernel_alignfPKiPKlPKjS0_iPii.has_indirect_call, 0
	.section	.AMDGPU.csdata,"",@progbits
; Kernel info:
; codeLenInByte = 5488
; TotalNumSgprs: 58
; NumVgprs: 77
; NumAgprs: 0
; TotalNumVgprs: 77
; ScratchSize: 12016
; MemoryBound: 0
; FloatMode: 240
; IeeeMode: 1
; LDSByteSize: 0 bytes/workgroup (compile time only)
; SGPRBlocks: 7
; VGPRBlocks: 9
; NumSGPRsForWavesPerEU: 58
; NumVGPRsForWavesPerEU: 77
; AccumOffset: 80
; Occupancy: 6
; WaveLimiterHint : 1
; COMPUTE_PGM_RSRC2:SCRATCH_EN: 1
; COMPUTE_PGM_RSRC2:USER_SGPR: 2
; COMPUTE_PGM_RSRC2:TRAP_HANDLER: 0
; COMPUTE_PGM_RSRC2:TGID_X_EN: 1
; COMPUTE_PGM_RSRC2:TGID_Y_EN: 0
; COMPUTE_PGM_RSRC2:TGID_Z_EN: 0
; COMPUTE_PGM_RSRC2:TIDIG_COMP_CNT: 0
; COMPUTE_PGM_RSRC3_GFX90A:ACCUM_OFFSET: 19
; COMPUTE_PGM_RSRC3_GFX90A:TG_SPLIT: 0
	.text
	.p2alignl 6, 3212836864
	.fill 256, 4, 3212836864
	.section	.AMDGPU.gpr_maximums,"",@progbits
	.set amdgpu.max_num_vgpr, 0
	.set amdgpu.max_num_agpr, 0
	.set amdgpu.max_num_sgpr, 0
	.text
	.type	__hip_cuid_14562c09f0b933e0,@object ; @__hip_cuid_14562c09f0b933e0
	.section	.bss,"aw",@nobits
	.globl	__hip_cuid_14562c09f0b933e0
__hip_cuid_14562c09f0b933e0:
	.byte	0                               ; 0x0
	.size	__hip_cuid_14562c09f0b933e0, 1

	.ident	"AMD clang version 22.0.0git (https://github.com/RadeonOpenCompute/llvm-project roc-7.2.4 26084 f58b06dce1f9c15707c5f808fd002e18c2accf7e)"
	.section	".note.GNU-stack","",@progbits
	.addrsig
	.addrsig_sym __hip_cuid_14562c09f0b933e0
	.amdgpu_metadata
---
amdhsa.kernels:
  - .agpr_count:     0
    .args:
      - .address_space:  global
        .offset:         0
        .size:           8
        .value_kind:     global_buffer
      - .offset:         8
        .size:           8
        .value_kind:     by_value
      - .offset:         16
        .size:           4
        .value_kind:     hidden_block_count_x
      - .offset:         20
        .size:           4
        .value_kind:     hidden_block_count_y
      - .offset:         24
        .size:           4
        .value_kind:     hidden_block_count_z
      - .offset:         28
        .size:           2
        .value_kind:     hidden_group_size_x
      - .offset:         30
        .size:           2
        .value_kind:     hidden_group_size_y
      - .offset:         32
        .size:           2
        .value_kind:     hidden_group_size_z
      - .offset:         34
        .size:           2
        .value_kind:     hidden_remainder_x
      - .offset:         36
        .size:           2
        .value_kind:     hidden_remainder_y
      - .offset:         38
        .size:           2
        .value_kind:     hidden_remainder_z
      - .offset:         56
        .size:           8
        .value_kind:     hidden_global_offset_x
      - .offset:         64
        .size:           8
        .value_kind:     hidden_global_offset_y
      - .offset:         72
        .size:           8
        .value_kind:     hidden_global_offset_z
      - .offset:         80
        .size:           2
        .value_kind:     hidden_grid_dims
    .group_segment_fixed_size: 0
    .kernarg_segment_align: 8
    .kernarg_segment_size: 272
    .language:       OpenCL C
    .language_version:
      - 2
      - 0
    .max_flat_workgroup_size: 1024
    .name:           _Z19kernel_baseToNumberPcl
    .private_segment_fixed_size: 0
    .sgpr_count:     54
    .sgpr_spill_count: 0
    .symbol:         _Z19kernel_baseToNumberPcl.kd
    .uniform_work_group_size: 1
    .uses_dynamic_stack: false
    .vgpr_count:     40
    .vgpr_spill_count: 0
    .wavefront_size: 64
  - .agpr_count:     0
    .args:
      - .address_space:  global
        .offset:         0
        .size:           8
        .value_kind:     global_buffer
      - .address_space:  global
        .offset:         8
        .size:           8
        .value_kind:     global_buffer
      - .address_space:  global
        .offset:         16
        .size:           8
        .value_kind:     global_buffer
      - .address_space:  global
        .offset:         24
        .size:           8
        .value_kind:     global_buffer
      - .address_space:  global
        .offset:         32
        .size:           8
        .value_kind:     global_buffer
      - .offset:         40
        .size:           4
        .value_kind:     by_value
      - .offset:         48
        .size:           4
        .value_kind:     hidden_block_count_x
      - .offset:         52
        .size:           4
        .value_kind:     hidden_block_count_y
      - .offset:         56
        .size:           4
        .value_kind:     hidden_block_count_z
      - .offset:         60
        .size:           2
        .value_kind:     hidden_group_size_x
      - .offset:         62
        .size:           2
        .value_kind:     hidden_group_size_y
      - .offset:         64
        .size:           2
        .value_kind:     hidden_group_size_z
      - .offset:         66
        .size:           2
        .value_kind:     hidden_remainder_x
      - .offset:         68
        .size:           2
        .value_kind:     hidden_remainder_y
      - .offset:         70
        .size:           2
        .value_kind:     hidden_remainder_z
      - .offset:         88
        .size:           8
        .value_kind:     hidden_global_offset_x
      - .offset:         96
        .size:           8
        .value_kind:     hidden_global_offset_y
      - .offset:         104
        .size:           8
        .value_kind:     hidden_global_offset_z
      - .offset:         112
        .size:           2
        .value_kind:     hidden_grid_dims
    .group_segment_fixed_size: 0
    .kernarg_segment_align: 8
    .kernarg_segment_size: 304
    .language:       OpenCL C
    .language_version:
      - 2
      - 0
    .max_flat_workgroup_size: 1024
    .name:           _Z19kernel_compressDataPKiPKlPKcPjPii
    .private_segment_fixed_size: 0
    .sgpr_count:     20
    .sgpr_spill_count: 0
    .symbol:         _Z19kernel_compressDataPKiPKlPKcPjPii.kd
    .uniform_work_group_size: 1
    .uses_dynamic_stack: false
    .vgpr_count:     14
    .vgpr_spill_count: 0
    .wavefront_size: 64
  - .agpr_count:     0
    .args:
      - .address_space:  global
        .offset:         0
        .size:           8
        .value_kind:     global_buffer
      - .address_space:  global
        .offset:         8
        .size:           8
        .value_kind:     global_buffer
      - .address_space:  global
        .offset:         16
        .size:           8
        .value_kind:     global_buffer
      - .address_space:  global
        .offset:         24
        .size:           8
        .value_kind:     global_buffer
      - .address_space:  global
        .offset:         32
        .size:           8
        .value_kind:     global_buffer
      - .address_space:  global
        .offset:         40
        .size:           8
        .value_kind:     global_buffer
      - .address_space:  global
        .offset:         48
        .size:           8
        .value_kind:     global_buffer
      - .offset:         56
        .size:           4
        .value_kind:     by_value
      - .offset:         64
        .size:           4
        .value_kind:     hidden_block_count_x
      - .offset:         68
        .size:           4
        .value_kind:     hidden_block_count_y
      - .offset:         72
        .size:           4
        .value_kind:     hidden_block_count_z
      - .offset:         76
        .size:           2
        .value_kind:     hidden_group_size_x
      - .offset:         78
        .size:           2
        .value_kind:     hidden_group_size_y
      - .offset:         80
        .size:           2
        .value_kind:     hidden_group_size_z
      - .offset:         82
        .size:           2
        .value_kind:     hidden_remainder_x
      - .offset:         84
        .size:           2
        .value_kind:     hidden_remainder_y
      - .offset:         86
        .size:           2
        .value_kind:     hidden_remainder_z
      - .offset:         104
        .size:           8
        .value_kind:     hidden_global_offset_x
      - .offset:         112
        .size:           8
        .value_kind:     hidden_global_offset_y
      - .offset:         120
        .size:           8
        .value_kind:     hidden_global_offset_z
      - .offset:         128
        .size:           2
        .value_kind:     hidden_grid_dims
    .group_segment_fixed_size: 0
    .kernarg_segment_align: 8
    .kernarg_segment_size: 320
    .language:       OpenCL C
    .language_version:
      - 2
      - 0
    .max_flat_workgroup_size: 1024
    .name:           _Z19kernel_createIndex4PKcPKiPKlPtS5_PlPii
    .private_segment_fixed_size: 0
    .sgpr_count:     19
    .sgpr_spill_count: 0
    .symbol:         _Z19kernel_createIndex4PKcPKiPKlPtS5_PlPii.kd
    .uniform_work_group_size: 1
    .uses_dynamic_stack: false
    .vgpr_count:     23
    .vgpr_spill_count: 0
    .wavefront_size: 64
  - .agpr_count:     0
    .args:
      - .address_space:  global
        .offset:         0
        .size:           8
        .value_kind:     global_buffer
      - .address_space:  global
        .offset:         8
        .size:           8
        .value_kind:     global_buffer
      - .address_space:  global
        .offset:         16
        .size:           8
        .value_kind:     global_buffer
      - .address_space:  global
        .offset:         24
        .size:           8
        .value_kind:     global_buffer
      - .address_space:  global
        .offset:         32
        .size:           8
        .value_kind:     global_buffer
      - .address_space:  global
        .offset:         40
        .size:           8
        .value_kind:     global_buffer
      - .address_space:  global
        .offset:         48
        .size:           8
        .value_kind:     global_buffer
      - .offset:         56
        .size:           4
        .value_kind:     by_value
      - .offset:         64
        .size:           4
        .value_kind:     hidden_block_count_x
      - .offset:         68
        .size:           4
        .value_kind:     hidden_block_count_y
      - .offset:         72
        .size:           4
        .value_kind:     hidden_block_count_z
      - .offset:         76
        .size:           2
        .value_kind:     hidden_group_size_x
      - .offset:         78
        .size:           2
        .value_kind:     hidden_group_size_y
      - .offset:         80
        .size:           2
        .value_kind:     hidden_group_size_z
      - .offset:         82
        .size:           2
        .value_kind:     hidden_remainder_x
      - .offset:         84
        .size:           2
        .value_kind:     hidden_remainder_y
      - .offset:         86
        .size:           2
        .value_kind:     hidden_remainder_z
      - .offset:         104
        .size:           8
        .value_kind:     hidden_global_offset_x
      - .offset:         112
        .size:           8
        .value_kind:     hidden_global_offset_y
      - .offset:         120
        .size:           8
        .value_kind:     hidden_global_offset_z
      - .offset:         128
        .size:           2
        .value_kind:     hidden_grid_dims
    .group_segment_fixed_size: 0
    .kernarg_segment_align: 8
    .kernarg_segment_size: 320
    .language:       OpenCL C
    .language_version:
      - 2
      - 0
    .max_flat_workgroup_size: 1024
    .name:           _Z19kernel_createIndex5PKcPKiPKlPtS5_PlPii
    .private_segment_fixed_size: 0
    .sgpr_count:     20
    .sgpr_spill_count: 0
    .symbol:         _Z19kernel_createIndex5PKcPKiPKlPtS5_PlPii.kd
    .uniform_work_group_size: 1
    .uses_dynamic_stack: false
    .vgpr_count:     27
    .vgpr_spill_count: 0
    .wavefront_size: 64
  - .agpr_count:     0
    .args:
      - .address_space:  global
        .offset:         0
        .size:           8
        .value_kind:     global_buffer
      - .address_space:  global
        .offset:         8
        .size:           8
        .value_kind:     global_buffer
      - .address_space:  global
        .offset:         16
        .size:           8
        .value_kind:     global_buffer
      - .address_space:  global
        .offset:         24
        .size:           8
        .value_kind:     global_buffer
      - .address_space:  global
        .offset:         32
        .size:           8
        .value_kind:     global_buffer
      - .address_space:  global
        .offset:         40
        .size:           8
        .value_kind:     global_buffer
      - .address_space:  global
        .offset:         48
        .size:           8
        .value_kind:     global_buffer
      - .offset:         56
        .size:           4
        .value_kind:     by_value
      - .offset:         64
        .size:           4
        .value_kind:     hidden_block_count_x
      - .offset:         68
        .size:           4
        .value_kind:     hidden_block_count_y
      - .offset:         72
        .size:           4
        .value_kind:     hidden_block_count_z
      - .offset:         76
        .size:           2
        .value_kind:     hidden_group_size_x
      - .offset:         78
        .size:           2
        .value_kind:     hidden_group_size_y
      - .offset:         80
        .size:           2
        .value_kind:     hidden_group_size_z
      - .offset:         82
        .size:           2
        .value_kind:     hidden_remainder_x
      - .offset:         84
        .size:           2
        .value_kind:     hidden_remainder_y
      - .offset:         86
        .size:           2
        .value_kind:     hidden_remainder_z
      - .offset:         104
        .size:           8
        .value_kind:     hidden_global_offset_x
      - .offset:         112
        .size:           8
        .value_kind:     hidden_global_offset_y
      - .offset:         120
        .size:           8
        .value_kind:     hidden_global_offset_z
      - .offset:         128
        .size:           2
        .value_kind:     hidden_grid_dims
    .group_segment_fixed_size: 0
    .kernarg_segment_align: 8
    .kernarg_segment_size: 320
    .language:       OpenCL C
    .language_version:
      - 2
      - 0
    .max_flat_workgroup_size: 1024
    .name:           _Z19kernel_createIndex6PKcPKiPKlPtS5_PlPii
    .private_segment_fixed_size: 0
    .sgpr_count:     24
    .sgpr_spill_count: 0
    .symbol:         _Z19kernel_createIndex6PKcPKiPKlPtS5_PlPii.kd
    .uniform_work_group_size: 1
    .uses_dynamic_stack: false
    .vgpr_count:     27
    .vgpr_spill_count: 0
    .wavefront_size: 64
  - .agpr_count:     0
    .args:
      - .address_space:  global
        .offset:         0
        .size:           8
        .value_kind:     global_buffer
      - .address_space:  global
        .offset:         8
        .size:           8
        .value_kind:     global_buffer
      - .address_space:  global
        .offset:         16
        .size:           8
        .value_kind:     global_buffer
      - .address_space:  global
        .offset:         24
        .size:           8
        .value_kind:     global_buffer
      - .address_space:  global
        .offset:         32
        .size:           8
        .value_kind:     global_buffer
      - .address_space:  global
        .offset:         40
        .size:           8
        .value_kind:     global_buffer
      - .address_space:  global
        .offset:         48
        .size:           8
        .value_kind:     global_buffer
      - .offset:         56
        .size:           4
        .value_kind:     by_value
      - .offset:         64
        .size:           4
        .value_kind:     hidden_block_count_x
      - .offset:         68
        .size:           4
        .value_kind:     hidden_block_count_y
      - .offset:         72
        .size:           4
        .value_kind:     hidden_block_count_z
      - .offset:         76
        .size:           2
        .value_kind:     hidden_group_size_x
      - .offset:         78
        .size:           2
        .value_kind:     hidden_group_size_y
      - .offset:         80
        .size:           2
        .value_kind:     hidden_group_size_z
      - .offset:         82
        .size:           2
        .value_kind:     hidden_remainder_x
      - .offset:         84
        .size:           2
        .value_kind:     hidden_remainder_y
      - .offset:         86
        .size:           2
        .value_kind:     hidden_remainder_z
      - .offset:         104
        .size:           8
        .value_kind:     hidden_global_offset_x
      - .offset:         112
        .size:           8
        .value_kind:     hidden_global_offset_y
      - .offset:         120
        .size:           8
        .value_kind:     hidden_global_offset_z
      - .offset:         128
        .size:           2
        .value_kind:     hidden_grid_dims
    .group_segment_fixed_size: 0
    .kernarg_segment_align: 8
    .kernarg_segment_size: 320
    .language:       OpenCL C
    .language_version:
      - 2
      - 0
    .max_flat_workgroup_size: 1024
    .name:           _Z19kernel_createIndex7PKcPKiPKlPtS5_PlPii
    .private_segment_fixed_size: 0
    .sgpr_count:     23
    .sgpr_spill_count: 0
    .symbol:         _Z19kernel_createIndex7PKcPKiPKlPtS5_PlPii.kd
    .uniform_work_group_size: 1
    .uses_dynamic_stack: false
    .vgpr_count:     29
    .vgpr_spill_count: 0
    .wavefront_size: 64
  - .agpr_count:     0
    .args:
      - .offset:         0
        .size:           4
        .value_kind:     by_value
      - .offset:         4
        .size:           4
        .value_kind:     by_value
      - .address_space:  global
        .offset:         8
        .size:           8
        .value_kind:     global_buffer
      - .address_space:  global
        .offset:         16
        .size:           8
        .value_kind:     global_buffer
      - .address_space:  global
        .offset:         24
        .size:           8
        .value_kind:     global_buffer
      - .offset:         32
        .size:           4
        .value_kind:     by_value
      - .offset:         40
        .size:           4
        .value_kind:     hidden_block_count_x
      - .offset:         44
        .size:           4
        .value_kind:     hidden_block_count_y
      - .offset:         48
        .size:           4
        .value_kind:     hidden_block_count_z
      - .offset:         52
        .size:           2
        .value_kind:     hidden_group_size_x
      - .offset:         54
        .size:           2
        .value_kind:     hidden_group_size_y
      - .offset:         56
        .size:           2
        .value_kind:     hidden_group_size_z
      - .offset:         58
        .size:           2
        .value_kind:     hidden_remainder_x
      - .offset:         60
        .size:           2
        .value_kind:     hidden_remainder_y
      - .offset:         62
        .size:           2
        .value_kind:     hidden_remainder_z
      - .offset:         80
        .size:           8
        .value_kind:     hidden_global_offset_x
      - .offset:         88
        .size:           8
        .value_kind:     hidden_global_offset_y
      - .offset:         96
        .size:           8
        .value_kind:     hidden_global_offset_z
      - .offset:         104
        .size:           2
        .value_kind:     hidden_grid_dims
    .group_segment_fixed_size: 0
    .kernarg_segment_align: 8
    .kernarg_segment_size: 296
    .language:       OpenCL C
    .language_version:
      - 2
      - 0
    .max_flat_workgroup_size: 1024
    .name:           _Z19kernel_createCutofffiPKiPlPii
    .private_segment_fixed_size: 0
    .sgpr_count:     14
    .sgpr_spill_count: 0
    .symbol:         _Z19kernel_createCutofffiPKiPlPii.kd
    .uniform_work_group_size: 1
    .uses_dynamic_stack: false
    .vgpr_count:     6
    .vgpr_spill_count: 0
    .wavefront_size: 64
  - .agpr_count:     0
    .args:
      - .address_space:  global
        .offset:         0
        .size:           8
        .value_kind:     global_buffer
      - .address_space:  global
        .offset:         8
        .size:           8
        .value_kind:     global_buffer
      - .address_space:  global
        .offset:         16
        .size:           8
        .value_kind:     global_buffer
      - .address_space:  global
        .offset:         24
        .size:           8
        .value_kind:     global_buffer
      - .offset:         32
        .size:           4
        .value_kind:     by_value
      - .offset:         40
        .size:           4
        .value_kind:     hidden_block_count_x
      - .offset:         44
        .size:           4
        .value_kind:     hidden_block_count_y
      - .offset:         48
        .size:           4
        .value_kind:     hidden_block_count_z
      - .offset:         52
        .size:           2
        .value_kind:     hidden_group_size_x
      - .offset:         54
        .size:           2
        .value_kind:     hidden_group_size_y
      - .offset:         56
        .size:           2
        .value_kind:     hidden_group_size_z
      - .offset:         58
        .size:           2
        .value_kind:     hidden_remainder_x
      - .offset:         60
        .size:           2
        .value_kind:     hidden_remainder_y
      - .offset:         62
        .size:           2
        .value_kind:     hidden_remainder_z
      - .offset:         80
        .size:           8
        .value_kind:     hidden_global_offset_x
      - .offset:         88
        .size:           8
        .value_kind:     hidden_global_offset_y
      - .offset:         96
        .size:           8
        .value_kind:     hidden_global_offset_z
      - .offset:         104
        .size:           2
        .value_kind:     hidden_grid_dims
    .group_segment_fixed_size: 0
    .kernarg_segment_align: 8
    .kernarg_segment_size: 296
    .language:       OpenCL C
    .language_version:
      - 2
      - 0
    .max_flat_workgroup_size: 1024
    .name:           _Z17kernel_mergeIndexPKlPKtPtS0_i
    .private_segment_fixed_size: 0
    .sgpr_count:     18
    .sgpr_spill_count: 0
    .symbol:         _Z17kernel_mergeIndexPKlPKtPtS0_i.kd
    .uniform_work_group_size: 1
    .uses_dynamic_stack: false
    .vgpr_count:     11
    .vgpr_spill_count: 0
    .wavefront_size: 64
  - .agpr_count:     0
    .args:
      - .address_space:  global
        .offset:         0
        .size:           8
        .value_kind:     global_buffer
      - .address_space:  global
        .offset:         8
        .size:           8
        .value_kind:     global_buffer
      - .offset:         16
        .size:           4
        .value_kind:     by_value
    .group_segment_fixed_size: 0
    .kernarg_segment_align: 8
    .kernarg_segment_size: 20
    .language:       OpenCL C
    .language_version:
      - 2
      - 0
    .max_flat_workgroup_size: 1024
    .name:           _Z27kernel_updateRepresentativePiS_i
    .private_segment_fixed_size: 0
    .sgpr_count:     18
    .sgpr_spill_count: 0
    .symbol:         _Z27kernel_updateRepresentativePiS_i.kd
    .uniform_work_group_size: 1
    .uses_dynamic_stack: false
    .vgpr_count:     2
    .vgpr_spill_count: 0
    .wavefront_size: 64
  - .agpr_count:     0
    .args:
      - .address_space:  global
        .offset:         0
        .size:           8
        .value_kind:     global_buffer
      - .address_space:  global
        .offset:         8
        .size:           8
        .value_kind:     global_buffer
      - .address_space:  global
        .offset:         16
        .size:           8
        .value_kind:     global_buffer
      - .address_space:  global
        .offset:         24
        .size:           8
        .value_kind:     global_buffer
      - .address_space:  global
        .offset:         32
        .size:           8
        .value_kind:     global_buffer
      - .offset:         40
        .size:           4
        .value_kind:     by_value
      - .offset:         48
        .size:           4
        .value_kind:     hidden_block_count_x
      - .offset:         52
        .size:           4
        .value_kind:     hidden_block_count_y
      - .offset:         56
        .size:           4
        .value_kind:     hidden_block_count_z
      - .offset:         60
        .size:           2
        .value_kind:     hidden_group_size_x
      - .offset:         62
        .size:           2
        .value_kind:     hidden_group_size_y
      - .offset:         64
        .size:           2
        .value_kind:     hidden_group_size_z
      - .offset:         66
        .size:           2
        .value_kind:     hidden_remainder_x
      - .offset:         68
        .size:           2
        .value_kind:     hidden_remainder_y
      - .offset:         70
        .size:           2
        .value_kind:     hidden_remainder_z
      - .offset:         88
        .size:           8
        .value_kind:     hidden_global_offset_x
      - .offset:         96
        .size:           8
        .value_kind:     hidden_global_offset_y
      - .offset:         104
        .size:           8
        .value_kind:     hidden_global_offset_z
      - .offset:         112
        .size:           2
        .value_kind:     hidden_grid_dims
    .group_segment_fixed_size: 0
    .kernarg_segment_align: 8
    .kernarg_segment_size: 304
    .language:       OpenCL C
    .language_version:
      - 2
      - 0
    .max_flat_workgroup_size: 1024
    .name:           _Z16kernel_makeTablePKlPKtS2_S0_Pti
    .private_segment_fixed_size: 0
    .sgpr_count:     21
    .sgpr_spill_count: 0
    .symbol:         _Z16kernel_makeTablePKlPKtS2_S0_Pti.kd
    .uniform_work_group_size: 1
    .uses_dynamic_stack: false
    .vgpr_count:     7
    .vgpr_spill_count: 0
    .wavefront_size: 64
  - .agpr_count:     0
    .args:
      - .address_space:  global
        .offset:         0
        .size:           8
        .value_kind:     global_buffer
      - .address_space:  global
        .offset:         8
        .size:           8
        .value_kind:     global_buffer
      - .address_space:  global
        .offset:         16
        .size:           8
        .value_kind:     global_buffer
      - .address_space:  global
        .offset:         24
        .size:           8
        .value_kind:     global_buffer
      - .address_space:  global
        .offset:         32
        .size:           8
        .value_kind:     global_buffer
      - .offset:         40
        .size:           4
        .value_kind:     by_value
      - .offset:         48
        .size:           4
        .value_kind:     hidden_block_count_x
      - .offset:         52
        .size:           4
        .value_kind:     hidden_block_count_y
      - .offset:         56
        .size:           4
        .value_kind:     hidden_block_count_z
      - .offset:         60
        .size:           2
        .value_kind:     hidden_group_size_x
      - .offset:         62
        .size:           2
        .value_kind:     hidden_group_size_y
      - .offset:         64
        .size:           2
        .value_kind:     hidden_group_size_z
      - .offset:         66
        .size:           2
        .value_kind:     hidden_remainder_x
      - .offset:         68
        .size:           2
        .value_kind:     hidden_remainder_y
      - .offset:         70
        .size:           2
        .value_kind:     hidden_remainder_z
      - .offset:         88
        .size:           8
        .value_kind:     hidden_global_offset_x
      - .offset:         96
        .size:           8
        .value_kind:     hidden_global_offset_y
      - .offset:         104
        .size:           8
        .value_kind:     hidden_global_offset_z
      - .offset:         112
        .size:           2
        .value_kind:     hidden_grid_dims
    .group_segment_fixed_size: 0
    .kernarg_segment_align: 8
    .kernarg_segment_size: 304
    .language:       OpenCL C
    .language_version:
      - 2
      - 0
    .max_flat_workgroup_size: 1024
    .name:           _Z17kernel_cleanTablePKlPKtS2_S0_Pti
    .private_segment_fixed_size: 0
    .sgpr_count:     21
    .sgpr_spill_count: 0
    .symbol:         _Z17kernel_cleanTablePKlPKtS2_S0_Pti.kd
    .uniform_work_group_size: 1
    .uses_dynamic_stack: false
    .vgpr_count:     7
    .vgpr_spill_count: 0
    .wavefront_size: 64
  - .agpr_count:     0
    .args:
      - .offset:         0
        .size:           4
        .value_kind:     by_value
      - .address_space:  global
        .offset:         8
        .size:           8
        .value_kind:     global_buffer
      - .address_space:  global
        .offset:         16
        .size:           8
        .value_kind:     global_buffer
      - .address_space:  global
        .offset:         24
        .size:           8
        .value_kind:     global_buffer
      - .offset:         32
        .size:           4
        .value_kind:     by_value
      - .offset:         36
        .size:           4
        .value_kind:     by_value
      - .offset:         40
        .size:           4
        .value_kind:     hidden_block_count_x
      - .offset:         44
        .size:           4
        .value_kind:     hidden_block_count_y
      - .offset:         48
        .size:           4
        .value_kind:     hidden_block_count_z
      - .offset:         52
        .size:           2
        .value_kind:     hidden_group_size_x
      - .offset:         54
        .size:           2
        .value_kind:     hidden_group_size_y
      - .offset:         56
        .size:           2
        .value_kind:     hidden_group_size_z
      - .offset:         58
        .size:           2
        .value_kind:     hidden_remainder_x
      - .offset:         60
        .size:           2
        .value_kind:     hidden_remainder_y
      - .offset:         62
        .size:           2
        .value_kind:     hidden_remainder_z
      - .offset:         80
        .size:           8
        .value_kind:     hidden_global_offset_x
      - .offset:         88
        .size:           8
        .value_kind:     hidden_global_offset_y
      - .offset:         96
        .size:           8
        .value_kind:     hidden_global_offset_z
      - .offset:         104
        .size:           2
        .value_kind:     hidden_grid_dims
    .group_segment_fixed_size: 0
    .kernarg_segment_align: 8
    .kernarg_segment_size: 296
    .language:       OpenCL C
    .language_version:
      - 2
      - 0
    .max_flat_workgroup_size: 1024
    .name:           _Z12kernel_magicfPKiS0_Piii
    .private_segment_fixed_size: 0
    .sgpr_count:     18
    .sgpr_spill_count: 0
    .symbol:         _Z12kernel_magicfPKiS0_Piii.kd
    .uniform_work_group_size: 1
    .uses_dynamic_stack: false
    .vgpr_count:     11
    .vgpr_spill_count: 0
    .wavefront_size: 64
  - .agpr_count:     0
    .args:
      - .offset:         0
        .size:           4
        .value_kind:     by_value
      - .offset:         4
        .size:           4
        .value_kind:     by_value
      - .address_space:  global
        .offset:         8
        .size:           8
        .value_kind:     global_buffer
      - .address_space:  global
        .offset:         16
        .size:           8
        .value_kind:     global_buffer
      - .address_space:  global
        .offset:         24
        .size:           8
        .value_kind:     global_buffer
      - .address_space:  global
        .offset:         32
        .size:           8
        .value_kind:     global_buffer
      - .address_space:  global
        .offset:         40
        .size:           8
        .value_kind:     global_buffer
      - .address_space:  global
        .offset:         48
        .size:           8
        .value_kind:     global_buffer
      - .address_space:  global
        .offset:         56
        .size:           8
        .value_kind:     global_buffer
      - .address_space:  global
        .offset:         64
        .size:           8
        .value_kind:     global_buffer
      - .offset:         72
        .size:           4
        .value_kind:     by_value
    .group_segment_fixed_size: 512
    .kernarg_segment_align: 8
    .kernarg_segment_size: 76
    .language:       OpenCL C
    .language_version:
      - 2
      - 0
    .max_flat_workgroup_size: 1024
    .name:           _Z13kernel_filterfiPKiPKlPKtS4_S2_S0_PiS4_i
    .private_segment_fixed_size: 0
    .sgpr_count:     28
    .sgpr_spill_count: 0
    .symbol:         _Z13kernel_filterfiPKiPKlPKtS4_S2_S0_PiS4_i.kd
    .uniform_work_group_size: 1
    .uses_dynamic_stack: false
    .vgpr_count:     22
    .vgpr_spill_count: 0
    .wavefront_size: 64
  - .agpr_count:     0
    .args:
      - .offset:         0
        .size:           4
        .value_kind:     by_value
      - .address_space:  global
        .offset:         8
        .size:           8
        .value_kind:     global_buffer
      - .address_space:  global
        .offset:         16
        .size:           8
        .value_kind:     global_buffer
      - .address_space:  global
        .offset:         24
        .size:           8
        .value_kind:     global_buffer
      - .address_space:  global
        .offset:         32
        .size:           8
        .value_kind:     global_buffer
      - .offset:         40
        .size:           4
        .value_kind:     by_value
      - .address_space:  global
        .offset:         48
        .size:           8
        .value_kind:     global_buffer
      - .offset:         56
        .size:           4
        .value_kind:     by_value
      - .offset:         64
        .size:           4
        .value_kind:     hidden_block_count_x
      - .offset:         68
        .size:           4
        .value_kind:     hidden_block_count_y
      - .offset:         72
        .size:           4
        .value_kind:     hidden_block_count_z
      - .offset:         76
        .size:           2
        .value_kind:     hidden_group_size_x
      - .offset:         78
        .size:           2
        .value_kind:     hidden_group_size_y
      - .offset:         80
        .size:           2
        .value_kind:     hidden_group_size_z
      - .offset:         82
        .size:           2
        .value_kind:     hidden_remainder_x
      - .offset:         84
        .size:           2
        .value_kind:     hidden_remainder_y
      - .offset:         86
        .size:           2
        .value_kind:     hidden_remainder_z
      - .offset:         104
        .size:           8
        .value_kind:     hidden_global_offset_x
      - .offset:         112
        .size:           8
        .value_kind:     hidden_global_offset_y
      - .offset:         120
        .size:           8
        .value_kind:     hidden_global_offset_z
      - .offset:         128
        .size:           2
        .value_kind:     hidden_grid_dims
    .group_segment_fixed_size: 0
    .kernarg_segment_align: 8
    .kernarg_segment_size: 320
    .language:       OpenCL C
    .language_version:
      - 2
      - 0
    .max_flat_workgroup_size: 1024
    .name:           _Z12kernel_alignfPKiPKlPKjS0_iPii
    .private_segment_fixed_size: 12016
    .sgpr_count:     58
    .sgpr_spill_count: 0
    .symbol:         _Z12kernel_alignfPKiPKlPKjS0_iPii.kd
    .uniform_work_group_size: 1
    .uses_dynamic_stack: false
    .vgpr_count:     77
    .vgpr_spill_count: 0
    .wavefront_size: 64
amdhsa.target:   amdgcn-amd-amdhsa--gfx950
amdhsa.version:
  - 1
  - 2
...

	.end_amdgpu_metadata
